;; amdgpu-corpus repo=ROCm/rocFFT kind=compiled arch=gfx906 opt=O3
	.text
	.amdgcn_target "amdgcn-amd-amdhsa--gfx906"
	.amdhsa_code_object_version 6
	.protected	fft_rtc_fwd_len840_factors_2_2_2_3_5_7_wgs_56_tpt_56_halfLds_dp_op_CI_CI_unitstride_sbrr_C2R_dirReg ; -- Begin function fft_rtc_fwd_len840_factors_2_2_2_3_5_7_wgs_56_tpt_56_halfLds_dp_op_CI_CI_unitstride_sbrr_C2R_dirReg
	.globl	fft_rtc_fwd_len840_factors_2_2_2_3_5_7_wgs_56_tpt_56_halfLds_dp_op_CI_CI_unitstride_sbrr_C2R_dirReg
	.p2align	8
	.type	fft_rtc_fwd_len840_factors_2_2_2_3_5_7_wgs_56_tpt_56_halfLds_dp_op_CI_CI_unitstride_sbrr_C2R_dirReg,@function
fft_rtc_fwd_len840_factors_2_2_2_3_5_7_wgs_56_tpt_56_halfLds_dp_op_CI_CI_unitstride_sbrr_C2R_dirReg: ; @fft_rtc_fwd_len840_factors_2_2_2_3_5_7_wgs_56_tpt_56_halfLds_dp_op_CI_CI_unitstride_sbrr_C2R_dirReg
; %bb.0:
	s_load_dwordx4 s[8:11], s[4:5], 0x58
	s_load_dwordx4 s[12:15], s[4:5], 0x0
	;; [unrolled: 1-line block ×3, first 2 shown]
	v_mul_u32_u24_e32 v1, 0x493, v0
	v_add_u32_sdwa v5, s6, v1 dst_sel:DWORD dst_unused:UNUSED_PAD src0_sel:DWORD src1_sel:WORD_1
	v_mov_b32_e32 v3, 0
	s_waitcnt lgkmcnt(0)
	v_cmp_lt_u64_e64 s[0:1], s[14:15], 2
	v_mov_b32_e32 v1, 0
	v_mov_b32_e32 v6, v3
	s_and_b64 vcc, exec, s[0:1]
	v_mov_b32_e32 v2, 0
	s_cbranch_vccnz .LBB0_8
; %bb.1:
	s_load_dwordx2 s[0:1], s[4:5], 0x10
	s_add_u32 s2, s18, 8
	s_addc_u32 s3, s19, 0
	s_add_u32 s6, s16, 8
	v_mov_b32_e32 v1, 0
	s_addc_u32 s7, s17, 0
	v_mov_b32_e32 v2, 0
	s_waitcnt lgkmcnt(0)
	s_add_u32 s20, s0, 8
	v_mov_b32_e32 v85, v2
	s_addc_u32 s21, s1, 0
	s_mov_b64 s[22:23], 1
	v_mov_b32_e32 v84, v1
.LBB0_2:                                ; =>This Inner Loop Header: Depth=1
	s_load_dwordx2 s[24:25], s[20:21], 0x0
                                        ; implicit-def: $vgpr88_vgpr89
	s_waitcnt lgkmcnt(0)
	v_or_b32_e32 v4, s25, v6
	v_cmp_ne_u64_e32 vcc, 0, v[3:4]
	s_and_saveexec_b64 s[0:1], vcc
	s_xor_b64 s[26:27], exec, s[0:1]
	s_cbranch_execz .LBB0_4
; %bb.3:                                ;   in Loop: Header=BB0_2 Depth=1
	v_cvt_f32_u32_e32 v4, s24
	v_cvt_f32_u32_e32 v7, s25
	s_sub_u32 s0, 0, s24
	s_subb_u32 s1, 0, s25
	v_mac_f32_e32 v4, 0x4f800000, v7
	v_rcp_f32_e32 v4, v4
	v_mul_f32_e32 v4, 0x5f7ffffc, v4
	v_mul_f32_e32 v7, 0x2f800000, v4
	v_trunc_f32_e32 v7, v7
	v_mac_f32_e32 v4, 0xcf800000, v7
	v_cvt_u32_f32_e32 v7, v7
	v_cvt_u32_f32_e32 v4, v4
	v_mul_lo_u32 v8, s0, v7
	v_mul_hi_u32 v9, s0, v4
	v_mul_lo_u32 v11, s1, v4
	v_mul_lo_u32 v10, s0, v4
	v_add_u32_e32 v8, v9, v8
	v_add_u32_e32 v8, v8, v11
	v_mul_hi_u32 v9, v4, v10
	v_mul_lo_u32 v11, v4, v8
	v_mul_hi_u32 v13, v4, v8
	v_mul_hi_u32 v12, v7, v10
	v_mul_lo_u32 v10, v7, v10
	v_mul_hi_u32 v14, v7, v8
	v_add_co_u32_e32 v9, vcc, v9, v11
	v_addc_co_u32_e32 v11, vcc, 0, v13, vcc
	v_mul_lo_u32 v8, v7, v8
	v_add_co_u32_e32 v9, vcc, v9, v10
	v_addc_co_u32_e32 v9, vcc, v11, v12, vcc
	v_addc_co_u32_e32 v10, vcc, 0, v14, vcc
	v_add_co_u32_e32 v8, vcc, v9, v8
	v_addc_co_u32_e32 v9, vcc, 0, v10, vcc
	v_add_co_u32_e32 v4, vcc, v4, v8
	v_addc_co_u32_e32 v7, vcc, v7, v9, vcc
	v_mul_lo_u32 v8, s0, v7
	v_mul_hi_u32 v9, s0, v4
	v_mul_lo_u32 v10, s1, v4
	v_mul_lo_u32 v11, s0, v4
	v_add_u32_e32 v8, v9, v8
	v_add_u32_e32 v8, v8, v10
	v_mul_lo_u32 v12, v4, v8
	v_mul_hi_u32 v13, v4, v11
	v_mul_hi_u32 v14, v4, v8
	v_mul_hi_u32 v10, v7, v11
	v_mul_lo_u32 v11, v7, v11
	v_mul_hi_u32 v9, v7, v8
	v_add_co_u32_e32 v12, vcc, v13, v12
	v_addc_co_u32_e32 v13, vcc, 0, v14, vcc
	v_mul_lo_u32 v8, v7, v8
	v_add_co_u32_e32 v11, vcc, v12, v11
	v_addc_co_u32_e32 v10, vcc, v13, v10, vcc
	v_addc_co_u32_e32 v9, vcc, 0, v9, vcc
	v_add_co_u32_e32 v8, vcc, v10, v8
	v_addc_co_u32_e32 v9, vcc, 0, v9, vcc
	v_add_co_u32_e32 v4, vcc, v4, v8
	v_addc_co_u32_e32 v9, vcc, v7, v9, vcc
	v_mad_u64_u32 v[7:8], s[0:1], v5, v9, 0
	v_mul_hi_u32 v10, v5, v4
	v_add_co_u32_e32 v11, vcc, v10, v7
	v_addc_co_u32_e32 v12, vcc, 0, v8, vcc
	v_mad_u64_u32 v[7:8], s[0:1], v6, v4, 0
	v_mad_u64_u32 v[9:10], s[0:1], v6, v9, 0
	v_add_co_u32_e32 v4, vcc, v11, v7
	v_addc_co_u32_e32 v4, vcc, v12, v8, vcc
	v_addc_co_u32_e32 v7, vcc, 0, v10, vcc
	v_add_co_u32_e32 v4, vcc, v4, v9
	v_addc_co_u32_e32 v9, vcc, 0, v7, vcc
	v_mul_lo_u32 v10, s25, v4
	v_mul_lo_u32 v11, s24, v9
	v_mad_u64_u32 v[7:8], s[0:1], s24, v4, 0
	v_add3_u32 v8, v8, v11, v10
	v_sub_u32_e32 v10, v6, v8
	v_mov_b32_e32 v11, s25
	v_sub_co_u32_e32 v7, vcc, v5, v7
	v_subb_co_u32_e64 v10, s[0:1], v10, v11, vcc
	v_subrev_co_u32_e64 v11, s[0:1], s24, v7
	v_subbrev_co_u32_e64 v10, s[0:1], 0, v10, s[0:1]
	v_cmp_le_u32_e64 s[0:1], s25, v10
	v_cndmask_b32_e64 v12, 0, -1, s[0:1]
	v_cmp_le_u32_e64 s[0:1], s24, v11
	v_cndmask_b32_e64 v11, 0, -1, s[0:1]
	v_cmp_eq_u32_e64 s[0:1], s25, v10
	v_cndmask_b32_e64 v10, v12, v11, s[0:1]
	v_add_co_u32_e64 v11, s[0:1], 2, v4
	v_addc_co_u32_e64 v12, s[0:1], 0, v9, s[0:1]
	v_add_co_u32_e64 v13, s[0:1], 1, v4
	v_addc_co_u32_e64 v14, s[0:1], 0, v9, s[0:1]
	v_subb_co_u32_e32 v8, vcc, v6, v8, vcc
	v_cmp_ne_u32_e64 s[0:1], 0, v10
	v_cmp_le_u32_e32 vcc, s25, v8
	v_cndmask_b32_e64 v10, v14, v12, s[0:1]
	v_cndmask_b32_e64 v12, 0, -1, vcc
	v_cmp_le_u32_e32 vcc, s24, v7
	v_cndmask_b32_e64 v7, 0, -1, vcc
	v_cmp_eq_u32_e32 vcc, s25, v8
	v_cndmask_b32_e32 v7, v12, v7, vcc
	v_cmp_ne_u32_e32 vcc, 0, v7
	v_cndmask_b32_e64 v7, v13, v11, s[0:1]
	v_cndmask_b32_e32 v89, v9, v10, vcc
	v_cndmask_b32_e32 v88, v4, v7, vcc
.LBB0_4:                                ;   in Loop: Header=BB0_2 Depth=1
	s_andn2_saveexec_b64 s[0:1], s[26:27]
	s_cbranch_execz .LBB0_6
; %bb.5:                                ;   in Loop: Header=BB0_2 Depth=1
	v_cvt_f32_u32_e32 v4, s24
	s_sub_i32 s26, 0, s24
	v_mov_b32_e32 v89, v3
	v_rcp_iflag_f32_e32 v4, v4
	v_mul_f32_e32 v4, 0x4f7ffffe, v4
	v_cvt_u32_f32_e32 v4, v4
	v_mul_lo_u32 v7, s26, v4
	v_mul_hi_u32 v7, v4, v7
	v_add_u32_e32 v4, v4, v7
	v_mul_hi_u32 v4, v5, v4
	v_mul_lo_u32 v7, v4, s24
	v_add_u32_e32 v8, 1, v4
	v_sub_u32_e32 v7, v5, v7
	v_subrev_u32_e32 v9, s24, v7
	v_cmp_le_u32_e32 vcc, s24, v7
	v_cndmask_b32_e32 v7, v7, v9, vcc
	v_cndmask_b32_e32 v4, v4, v8, vcc
	v_add_u32_e32 v8, 1, v4
	v_cmp_le_u32_e32 vcc, s24, v7
	v_cndmask_b32_e32 v88, v4, v8, vcc
.LBB0_6:                                ;   in Loop: Header=BB0_2 Depth=1
	s_or_b64 exec, exec, s[0:1]
	v_mul_lo_u32 v4, v89, s24
	v_mul_lo_u32 v9, v88, s25
	v_mad_u64_u32 v[7:8], s[0:1], v88, s24, 0
	s_load_dwordx2 s[0:1], s[6:7], 0x0
	s_load_dwordx2 s[24:25], s[2:3], 0x0
	v_add3_u32 v4, v8, v9, v4
	v_sub_co_u32_e32 v5, vcc, v5, v7
	v_subb_co_u32_e32 v4, vcc, v6, v4, vcc
	s_waitcnt lgkmcnt(0)
	v_mul_lo_u32 v6, s0, v4
	v_mul_lo_u32 v7, s1, v5
	v_mad_u64_u32 v[1:2], s[0:1], s0, v5, v[1:2]
	v_mul_lo_u32 v4, s24, v4
	v_mul_lo_u32 v8, s25, v5
	v_mad_u64_u32 v[84:85], s[0:1], s24, v5, v[84:85]
	s_add_u32 s22, s22, 1
	s_addc_u32 s23, s23, 0
	s_add_u32 s2, s2, 8
	v_add3_u32 v85, v8, v85, v4
	s_addc_u32 s3, s3, 0
	v_mov_b32_e32 v4, s14
	s_add_u32 s6, s6, 8
	v_mov_b32_e32 v5, s15
	s_addc_u32 s7, s7, 0
	v_cmp_ge_u64_e32 vcc, s[22:23], v[4:5]
	s_add_u32 s20, s20, 8
	v_add3_u32 v2, v7, v2, v6
	s_addc_u32 s21, s21, 0
	s_cbranch_vccnz .LBB0_9
; %bb.7:                                ;   in Loop: Header=BB0_2 Depth=1
	v_mov_b32_e32 v5, v88
	v_mov_b32_e32 v6, v89
	s_branch .LBB0_2
.LBB0_8:
	v_mov_b32_e32 v85, v2
	v_mov_b32_e32 v89, v6
	;; [unrolled: 1-line block ×4, first 2 shown]
.LBB0_9:
	s_load_dwordx2 s[2:3], s[4:5], 0x28
	s_lshl_b64 s[6:7], s[14:15], 3
	s_add_u32 s4, s18, s6
	s_addc_u32 s5, s19, s7
                                        ; implicit-def: $vgpr86
	s_waitcnt lgkmcnt(0)
	v_cmp_gt_u64_e64 s[0:1], s[2:3], v[88:89]
	v_cmp_le_u64_e32 vcc, s[2:3], v[88:89]
	s_and_saveexec_b64 s[2:3], vcc
	s_xor_b64 s[2:3], exec, s[2:3]
; %bb.10:
	s_mov_b32 s14, 0x4924925
	v_mul_hi_u32 v1, v0, s14
	v_mul_u32_u24_e32 v1, 56, v1
	v_sub_u32_e32 v86, v0, v1
                                        ; implicit-def: $vgpr0
                                        ; implicit-def: $vgpr1_vgpr2
; %bb.11:
	s_or_saveexec_b64 s[2:3], s[2:3]
	s_load_dwordx2 s[4:5], s[4:5], 0x0
	s_xor_b64 exec, exec, s[2:3]
	s_cbranch_execz .LBB0_15
; %bb.12:
	s_add_u32 s6, s16, s6
	s_addc_u32 s7, s17, s7
	s_load_dwordx2 s[6:7], s[6:7], 0x0
	s_mov_b32 s14, 0x4924925
	v_mul_hi_u32 v5, v0, s14
	v_lshlrev_b64 v[1:2], 4, v[1:2]
	s_waitcnt lgkmcnt(0)
	v_mul_lo_u32 v6, s7, v88
	v_mul_lo_u32 v7, s6, v89
	v_mad_u64_u32 v[3:4], s[6:7], s6, v88, 0
	v_mul_u32_u24_e32 v5, 56, v5
	v_sub_u32_e32 v86, v0, v5
	v_add3_u32 v4, v4, v7, v6
	v_lshlrev_b64 v[3:4], 4, v[3:4]
	v_mov_b32_e32 v0, s9
	v_add_co_u32_e32 v3, vcc, s8, v3
	v_addc_co_u32_e32 v0, vcc, v0, v4, vcc
	v_add_co_u32_e32 v1, vcc, v3, v1
	v_addc_co_u32_e32 v0, vcc, v0, v2, vcc
	v_lshlrev_b32_e32 v63, 4, v86
	v_add_co_u32_e32 v57, vcc, v1, v63
	v_addc_co_u32_e32 v58, vcc, 0, v0, vcc
	s_movk_i32 s6, 0x1000
	v_add_co_u32_e32 v42, vcc, s6, v57
	v_or_b32_e32 v26, 0x1c00, v63
	v_addc_co_u32_e32 v43, vcc, 0, v58, vcc
	v_add_co_u32_e32 v44, vcc, v1, v26
	v_addc_co_u32_e32 v45, vcc, 0, v0, vcc
	s_movk_i32 s6, 0x2000
	v_add_co_u32_e32 v59, vcc, s6, v57
	v_addc_co_u32_e32 v60, vcc, 0, v58, vcc
	global_load_dwordx4 v[2:5], v[57:58], off
	global_load_dwordx4 v[6:9], v[57:58], off offset:896
	global_load_dwordx4 v[10:13], v[57:58], off offset:1792
	;; [unrolled: 1-line block ×5, first 2 shown]
	global_load_dwordx4 v[26:29], v[44:45], off
	global_load_dwordx4 v[30:33], v[42:43], off offset:3968
	global_load_dwordx4 v[34:37], v[42:43], off offset:1280
	;; [unrolled: 1-line block ×3, first 2 shown]
	s_nop 0
	global_load_dwordx4 v[42:45], v[59:60], off offset:768
	global_load_dwordx4 v[46:49], v[59:60], off offset:1664
	v_add_co_u32_e32 v61, vcc, 0x3000, v57
	global_load_dwordx4 v[50:53], v[59:60], off offset:2560
	global_load_dwordx4 v[54:57], v[59:60], off offset:3456
	v_addc_co_u32_e32 v62, vcc, 0, v58, vcc
	global_load_dwordx4 v[58:61], v[61:62], off offset:256
	v_add_u32_e32 v62, 0, v63
	v_cmp_eq_u32_e32 vcc, 55, v86
	s_waitcnt vmcnt(14)
	ds_write_b128 v62, v[2:5]
	s_waitcnt vmcnt(13)
	ds_write_b128 v62, v[6:9] offset:896
	s_waitcnt vmcnt(12)
	ds_write_b128 v62, v[10:13] offset:1792
	;; [unrolled: 2-line block ×5, first 2 shown]
	ds_write_b128 v62, v[22:25] offset:4480
	s_waitcnt vmcnt(6)
	ds_write_b128 v62, v[34:37] offset:5376
	s_waitcnt vmcnt(5)
	ds_write_b128 v62, v[38:41] offset:6272
	ds_write_b128 v62, v[30:33] offset:8064
	s_waitcnt vmcnt(4)
	ds_write_b128 v62, v[42:45] offset:8960
	s_waitcnt vmcnt(3)
	;; [unrolled: 2-line block ×5, first 2 shown]
	ds_write_b128 v62, v[58:61] offset:12544
	s_and_saveexec_b64 s[6:7], vcc
	s_cbranch_execz .LBB0_14
; %bb.13:
	v_add_co_u32_e32 v1, vcc, 0x3000, v1
	v_addc_co_u32_e32 v2, vcc, 0, v0, vcc
	global_load_dwordx4 v[0:3], v[1:2], off offset:1152
	v_mov_b32_e32 v4, 0
	v_mov_b32_e32 v86, 55
	s_waitcnt vmcnt(0)
	ds_write_b128 v4, v[0:3] offset:13440
.LBB0_14:
	s_or_b64 exec, exec, s[6:7]
.LBB0_15:
	s_or_b64 exec, exec, s[2:3]
	v_lshlrev_b32_e32 v0, 4, v86
	v_add_u32_e32 v92, 0, v0
	s_waitcnt lgkmcnt(0)
	; wave barrier
	s_waitcnt lgkmcnt(0)
	v_sub_u32_e32 v10, 0, v0
	ds_read_b64 v[6:7], v92
	ds_read_b64 v[8:9], v10 offset:13440
	s_add_u32 s6, s12, 0x3460
	s_addc_u32 s7, s13, 0
	v_cmp_ne_u32_e32 vcc, 0, v86
                                        ; implicit-def: $vgpr4_vgpr5
	s_waitcnt lgkmcnt(0)
	v_add_f64 v[0:1], v[6:7], v[8:9]
	v_add_f64 v[2:3], v[6:7], -v[8:9]
	s_and_saveexec_b64 s[2:3], vcc
	s_xor_b64 s[2:3], exec, s[2:3]
	s_cbranch_execz .LBB0_17
; %bb.16:
	v_mov_b32_e32 v87, 0
	v_lshlrev_b64 v[0:1], 4, v[86:87]
	v_mov_b32_e32 v2, s7
	v_add_co_u32_e32 v0, vcc, s6, v0
	v_addc_co_u32_e32 v1, vcc, v2, v1, vcc
	global_load_dwordx4 v[2:5], v[0:1], off
	ds_read_b64 v[0:1], v10 offset:13448
	ds_read_b64 v[11:12], v92 offset:8
	v_add_f64 v[13:14], v[6:7], v[8:9]
	v_add_f64 v[8:9], v[6:7], -v[8:9]
	s_waitcnt lgkmcnt(0)
	v_add_f64 v[15:16], v[0:1], v[11:12]
	v_add_f64 v[0:1], v[11:12], -v[0:1]
	s_waitcnt vmcnt(0)
	v_fma_f64 v[6:7], -v[8:9], v[4:5], v[13:14]
	v_fma_f64 v[11:12], v[15:16], v[4:5], -v[0:1]
	v_fma_f64 v[13:14], v[8:9], v[4:5], v[13:14]
	v_fma_f64 v[17:18], v[15:16], v[4:5], v[0:1]
	;; [unrolled: 1-line block ×4, first 2 shown]
	v_fma_f64 v[0:1], -v[15:16], v[2:3], v[13:14]
	v_fma_f64 v[2:3], v[8:9], v[2:3], v[17:18]
	ds_write_b128 v10, v[4:7] offset:13440
	v_mov_b32_e32 v4, v86
	v_mov_b32_e32 v5, v87
.LBB0_17:
	s_andn2_saveexec_b64 s[2:3], s[2:3]
	s_cbranch_execz .LBB0_19
; %bb.18:
	v_mov_b32_e32 v8, 0
	ds_read_b128 v[4:7], v8 offset:6720
	s_waitcnt lgkmcnt(0)
	v_add_f64 v[11:12], v[4:5], v[4:5]
	v_mul_f64 v[13:14], v[6:7], -2.0
	v_mov_b32_e32 v4, 0
	v_mov_b32_e32 v5, 0
	ds_write_b128 v8, v[11:14] offset:6720
.LBB0_19:
	s_or_b64 exec, exec, s[2:3]
	v_lshlrev_b64 v[4:5], 4, v[4:5]
	v_mov_b32_e32 v6, s7
	v_add_co_u32_e32 v23, vcc, s6, v4
	v_addc_co_u32_e32 v24, vcc, v6, v5, vcc
	global_load_dwordx4 v[4:7], v[23:24], off offset:896
	global_load_dwordx4 v[11:14], v[23:24], off offset:1792
	ds_write_b128 v92, v[0:3]
	ds_read_b128 v[0:3], v92 offset:896
	ds_read_b128 v[15:18], v10 offset:12544
	global_load_dwordx4 v[19:22], v[23:24], off offset:2688
	s_movk_i32 s2, 0x1000
	s_waitcnt lgkmcnt(0)
	v_add_f64 v[8:9], v[0:1], v[15:16]
	v_add_f64 v[25:26], v[17:18], v[2:3]
	v_add_f64 v[15:16], v[0:1], -v[15:16]
	v_add_f64 v[0:1], v[2:3], -v[17:18]
	s_waitcnt vmcnt(2)
	v_fma_f64 v[2:3], v[15:16], v[6:7], v[8:9]
	v_fma_f64 v[17:18], v[25:26], v[6:7], v[0:1]
	v_fma_f64 v[8:9], -v[15:16], v[6:7], v[8:9]
	v_fma_f64 v[27:28], v[25:26], v[6:7], -v[0:1]
	v_fma_f64 v[0:1], -v[25:26], v[4:5], v[2:3]
	v_fma_f64 v[2:3], v[15:16], v[4:5], v[17:18]
	v_fma_f64 v[6:7], v[25:26], v[4:5], v[8:9]
	;; [unrolled: 1-line block ×3, first 2 shown]
	ds_write_b128 v92, v[0:3] offset:896
	ds_write_b128 v10, v[6:9] offset:12544
	ds_read_b128 v[0:3], v92 offset:1792
	ds_read_b128 v[4:7], v10 offset:11648
	global_load_dwordx4 v[15:18], v[23:24], off offset:3584
	s_waitcnt lgkmcnt(0)
	v_add_f64 v[8:9], v[0:1], v[4:5]
	v_add_f64 v[25:26], v[6:7], v[2:3]
	v_add_f64 v[27:28], v[0:1], -v[4:5]
	v_add_f64 v[0:1], v[2:3], -v[6:7]
	s_waitcnt vmcnt(2)
	v_fma_f64 v[2:3], v[27:28], v[13:14], v[8:9]
	v_fma_f64 v[4:5], v[25:26], v[13:14], v[0:1]
	v_fma_f64 v[6:7], -v[27:28], v[13:14], v[8:9]
	v_fma_f64 v[8:9], v[25:26], v[13:14], -v[0:1]
	v_fma_f64 v[0:1], -v[25:26], v[11:12], v[2:3]
	v_fma_f64 v[2:3], v[27:28], v[11:12], v[4:5]
	v_fma_f64 v[4:5], v[25:26], v[11:12], v[6:7]
	;; [unrolled: 1-line block ×3, first 2 shown]
	ds_write_b128 v92, v[0:3] offset:1792
	ds_write_b128 v10, v[4:7] offset:11648
	v_add_co_u32_e32 v0, vcc, s2, v23
	v_addc_co_u32_e32 v1, vcc, 0, v24, vcc
	ds_read_b128 v[2:5], v92 offset:2688
	ds_read_b128 v[6:9], v10 offset:10752
	global_load_dwordx4 v[11:14], v[0:1], off offset:384
	v_cmp_gt_u32_e32 vcc, 28, v86
	s_waitcnt lgkmcnt(0)
	v_add_f64 v[23:24], v[2:3], v[6:7]
	v_add_f64 v[25:26], v[8:9], v[4:5]
	v_add_f64 v[27:28], v[2:3], -v[6:7]
	v_add_f64 v[2:3], v[4:5], -v[8:9]
	s_waitcnt vmcnt(2)
	v_fma_f64 v[4:5], v[27:28], v[21:22], v[23:24]
	v_fma_f64 v[6:7], v[25:26], v[21:22], v[2:3]
	v_fma_f64 v[8:9], -v[27:28], v[21:22], v[23:24]
	v_fma_f64 v[21:22], v[25:26], v[21:22], -v[2:3]
	v_fma_f64 v[2:3], -v[25:26], v[19:20], v[4:5]
	v_fma_f64 v[4:5], v[27:28], v[19:20], v[6:7]
	v_fma_f64 v[6:7], v[25:26], v[19:20], v[8:9]
	;; [unrolled: 1-line block ×3, first 2 shown]
	ds_write_b128 v92, v[2:5] offset:2688
	ds_write_b128 v10, v[6:9] offset:10752
	ds_read_b128 v[2:5], v92 offset:3584
	ds_read_b128 v[6:9], v10 offset:9856
	global_load_dwordx4 v[19:22], v[0:1], off offset:1280
	s_waitcnt lgkmcnt(0)
	v_add_f64 v[23:24], v[2:3], v[6:7]
	v_add_f64 v[25:26], v[8:9], v[4:5]
	v_add_f64 v[27:28], v[2:3], -v[6:7]
	v_add_f64 v[2:3], v[4:5], -v[8:9]
	s_waitcnt vmcnt(2)
	v_fma_f64 v[4:5], v[27:28], v[17:18], v[23:24]
	v_fma_f64 v[6:7], v[25:26], v[17:18], v[2:3]
	v_fma_f64 v[8:9], -v[27:28], v[17:18], v[23:24]
	v_fma_f64 v[17:18], v[25:26], v[17:18], -v[2:3]
	v_fma_f64 v[2:3], -v[25:26], v[15:16], v[4:5]
	v_fma_f64 v[4:5], v[27:28], v[15:16], v[6:7]
	v_fma_f64 v[6:7], v[25:26], v[15:16], v[8:9]
	;; [unrolled: 1-line block ×3, first 2 shown]
	ds_write_b128 v92, v[2:5] offset:3584
	ds_write_b128 v10, v[6:9] offset:9856
	ds_read_b128 v[2:5], v92 offset:4480
	ds_read_b128 v[6:9], v10 offset:8960
	s_waitcnt lgkmcnt(0)
	v_add_f64 v[15:16], v[2:3], v[6:7]
	v_add_f64 v[17:18], v[8:9], v[4:5]
	v_add_f64 v[23:24], v[2:3], -v[6:7]
	v_add_f64 v[2:3], v[4:5], -v[8:9]
	s_waitcnt vmcnt(1)
	v_fma_f64 v[4:5], v[23:24], v[13:14], v[15:16]
	v_fma_f64 v[6:7], v[17:18], v[13:14], v[2:3]
	v_fma_f64 v[8:9], -v[23:24], v[13:14], v[15:16]
	v_fma_f64 v[13:14], v[17:18], v[13:14], -v[2:3]
	v_fma_f64 v[2:3], -v[17:18], v[11:12], v[4:5]
	v_fma_f64 v[4:5], v[23:24], v[11:12], v[6:7]
	v_fma_f64 v[6:7], v[17:18], v[11:12], v[8:9]
	;; [unrolled: 1-line block ×3, first 2 shown]
	ds_write_b128 v92, v[2:5] offset:4480
	ds_write_b128 v10, v[6:9] offset:8960
	ds_read_b128 v[2:5], v92 offset:5376
	ds_read_b128 v[6:9], v10 offset:8064
	s_waitcnt lgkmcnt(0)
	v_add_f64 v[11:12], v[2:3], v[6:7]
	v_add_f64 v[13:14], v[8:9], v[4:5]
	v_add_f64 v[15:16], v[2:3], -v[6:7]
	v_add_f64 v[2:3], v[4:5], -v[8:9]
	s_waitcnt vmcnt(0)
	v_fma_f64 v[4:5], v[15:16], v[21:22], v[11:12]
	v_fma_f64 v[6:7], v[13:14], v[21:22], v[2:3]
	v_fma_f64 v[8:9], -v[15:16], v[21:22], v[11:12]
	v_fma_f64 v[11:12], v[13:14], v[21:22], -v[2:3]
	v_fma_f64 v[2:3], -v[13:14], v[19:20], v[4:5]
	v_fma_f64 v[4:5], v[15:16], v[19:20], v[6:7]
	v_fma_f64 v[6:7], v[13:14], v[19:20], v[8:9]
	;; [unrolled: 1-line block ×3, first 2 shown]
	ds_write_b128 v92, v[2:5] offset:5376
	ds_write_b128 v10, v[6:9] offset:8064
	s_and_saveexec_b64 s[2:3], vcc
	s_cbranch_execz .LBB0_21
; %bb.20:
	global_load_dwordx4 v[0:3], v[0:1], off offset:2176
	ds_read_b128 v[4:7], v92 offset:6272
	ds_read_b128 v[11:14], v10 offset:7168
	s_waitcnt lgkmcnt(0)
	v_add_f64 v[8:9], v[4:5], v[11:12]
	v_add_f64 v[15:16], v[13:14], v[6:7]
	v_add_f64 v[11:12], v[4:5], -v[11:12]
	v_add_f64 v[4:5], v[6:7], -v[13:14]
	s_waitcnt vmcnt(0)
	v_fma_f64 v[6:7], v[11:12], v[2:3], v[8:9]
	v_fma_f64 v[13:14], v[15:16], v[2:3], v[4:5]
	v_fma_f64 v[8:9], -v[11:12], v[2:3], v[8:9]
	v_fma_f64 v[17:18], v[15:16], v[2:3], -v[4:5]
	v_fma_f64 v[2:3], -v[15:16], v[0:1], v[6:7]
	v_fma_f64 v[4:5], v[11:12], v[0:1], v[13:14]
	v_fma_f64 v[6:7], v[15:16], v[0:1], v[8:9]
	;; [unrolled: 1-line block ×3, first 2 shown]
	ds_write_b128 v92, v[2:5] offset:6272
	ds_write_b128 v10, v[6:9] offset:7168
.LBB0_21:
	s_or_b64 exec, exec, s[2:3]
	s_waitcnt lgkmcnt(0)
	; wave barrier
	s_waitcnt lgkmcnt(0)
	s_waitcnt lgkmcnt(0)
	; wave barrier
	s_waitcnt lgkmcnt(0)
	ds_read_b128 v[0:3], v92 offset:6720
	ds_read_b128 v[4:7], v92
	ds_read_b128 v[8:11], v92 offset:896
	ds_read_b128 v[12:15], v92 offset:7616
	;; [unrolled: 1-line block ×10, first 2 shown]
	s_waitcnt lgkmcnt(10)
	v_add_f64 v[0:1], v[4:5], -v[0:1]
	v_add_f64 v[2:3], v[6:7], -v[2:3]
	s_waitcnt lgkmcnt(8)
	v_add_f64 v[12:13], v[8:9], -v[12:13]
	v_add_f64 v[14:15], v[10:11], -v[14:15]
	v_lshl_add_u32 v64, v86, 4, v92
	ds_read_b128 v[48:51], v92 offset:5376
	ds_read_b128 v[52:55], v92 offset:6272
	;; [unrolled: 1-line block ×4, first 2 shown]
	s_waitcnt lgkmcnt(0)
	; wave barrier
	s_waitcnt lgkmcnt(0)
	v_fma_f64 v[4:5], v[4:5], 2.0, -v[0:1]
	v_fma_f64 v[6:7], v[6:7], 2.0, -v[2:3]
	v_add_f64 v[24:25], v[16:17], -v[24:25]
	v_add_f64 v[26:27], v[18:19], -v[26:27]
	v_fma_f64 v[8:9], v[8:9], 2.0, -v[12:13]
	v_fma_f64 v[10:11], v[10:11], 2.0, -v[14:15]
	ds_write_b128 v64, v[0:3] offset:16
	v_add_u32_e32 v87, 0x70, v86
	v_add_u32_e32 v66, 0xe0, v86
	ds_write_b128 v64, v[4:7]
	v_add_f64 v[4:5], v[20:21], -v[28:29]
	v_add_f64 v[6:7], v[22:23], -v[30:31]
	v_add_u32_e32 v64, 56, v86
	v_lshl_add_u32 v65, v64, 5, 0
	v_fma_f64 v[0:1], v[16:17], 2.0, -v[24:25]
	v_fma_f64 v[2:3], v[18:19], 2.0, -v[26:27]
	ds_write_b128 v65, v[12:15] offset:16
	ds_write_b128 v65, v[8:11]
	v_fma_f64 v[12:13], v[20:21], 2.0, -v[4:5]
	v_fma_f64 v[14:15], v[22:23], 2.0, -v[6:7]
	v_add_f64 v[8:9], v[32:33], -v[40:41]
	v_add_f64 v[10:11], v[34:35], -v[42:43]
	v_add_u32_e32 v65, 0xa8, v86
	v_lshl_add_u32 v16, v87, 5, 0
	v_lshl_add_u32 v18, v65, 5, 0
	ds_write_b128 v16, v[0:3]
	ds_write_b128 v16, v[24:27] offset:16
	v_add_f64 v[16:17], v[36:37], -v[44:45]
	ds_write_b128 v18, v[12:15]
	ds_write_b128 v18, v[4:7] offset:16
	v_add_f64 v[18:19], v[38:39], -v[46:47]
	v_fma_f64 v[0:1], v[32:33], 2.0, -v[8:9]
	v_fma_f64 v[2:3], v[34:35], 2.0, -v[10:11]
	v_add_f64 v[20:21], v[48:49], -v[56:57]
	v_add_f64 v[22:23], v[50:51], -v[58:59]
	;; [unrolled: 1-line block ×4, first 2 shown]
	v_lshl_add_u32 v24, v66, 5, 0
	v_fma_f64 v[12:13], v[36:37], 2.0, -v[16:17]
	v_fma_f64 v[14:15], v[38:39], 2.0, -v[18:19]
	ds_write_b128 v24, v[0:3]
	ds_write_b128 v24, v[8:11] offset:16
	v_fma_f64 v[8:9], v[48:49], 2.0, -v[20:21]
	v_fma_f64 v[10:11], v[50:51], 2.0, -v[22:23]
	;; [unrolled: 1-line block ×4, first 2 shown]
	v_add_u32_e32 v69, 0x118, v86
	v_lshl_add_u32 v24, v69, 5, 0
	v_add_u32_e32 v74, 0x150, v86
	ds_write_b128 v24, v[12:15]
	ds_write_b128 v24, v[16:19] offset:16
	v_add_u32_e32 v73, 0x188, v86
	v_lshl_add_u32 v12, v74, 5, 0
	ds_write_b128 v12, v[8:11]
	ds_write_b128 v12, v[20:23] offset:16
	s_and_saveexec_b64 s[2:3], vcc
	s_cbranch_execz .LBB0_23
; %bb.22:
	v_lshl_add_u32 v8, v73, 5, 0
	ds_write_b128 v8, v[0:3]
	ds_write_b128 v8, v[4:7] offset:16
.LBB0_23:
	s_or_b64 exec, exec, s[2:3]
	s_waitcnt lgkmcnt(0)
	; wave barrier
	s_waitcnt lgkmcnt(0)
	ds_read_b128 v[12:15], v92
	ds_read_b128 v[8:11], v92 offset:896
	ds_read_b128 v[36:39], v92 offset:7616
	;; [unrolled: 1-line block ×13, first 2 shown]
	v_lshlrev_b32_e32 v67, 1, v64
	v_lshlrev_b32_e32 v68, 1, v87
	;; [unrolled: 1-line block ×6, first 2 shown]
	s_and_saveexec_b64 s[2:3], vcc
	s_cbranch_execz .LBB0_25
; %bb.24:
	ds_read_b128 v[0:3], v92 offset:6272
	ds_read_b128 v[4:7], v92 offset:12992
.LBB0_25:
	s_or_b64 exec, exec, s[2:3]
	v_and_b32_e32 v75, 1, v86
	v_lshlrev_b32_e32 v74, 4, v75
	global_load_dwordx4 v[76:79], v74, s[12:13]
	s_movk_i32 s2, 0x7c
	v_lshlrev_b32_e32 v74, 1, v86
	s_movk_i32 s3, 0xfc
	s_movk_i32 s6, 0x1fc
	;; [unrolled: 1-line block ×4, first 2 shown]
	v_and_or_b32 v80, v74, s2, v75
	v_and_or_b32 v81, v67, s3, v75
	;; [unrolled: 1-line block ×7, first 2 shown]
	v_lshl_add_u32 v117, v80, 4, 0
	v_lshl_add_u32 v118, v81, 4, 0
	;; [unrolled: 1-line block ×7, first 2 shown]
	s_waitcnt lgkmcnt(0)
	; wave barrier
	s_waitcnt lgkmcnt(0)
	v_lshlrev_b32_e32 v73, 1, v73
	s_waitcnt vmcnt(0)
	v_mul_f64 v[80:81], v[62:63], v[78:79]
	v_mul_f64 v[82:83], v[60:61], v[78:79]
	;; [unrolled: 1-line block ×16, first 2 shown]
	v_fma_f64 v[60:61], v[60:61], v[76:77], -v[80:81]
	v_fma_f64 v[62:63], v[62:63], v[76:77], v[82:83]
	v_fma_f64 v[36:37], v[36:37], v[76:77], -v[90:91]
	v_fma_f64 v[38:39], v[38:39], v[76:77], v[93:94]
	;; [unrolled: 2-line block ×8, first 2 shown]
	v_add_f64 v[4:5], v[12:13], -v[60:61]
	v_add_f64 v[6:7], v[14:15], -v[62:63]
	;; [unrolled: 1-line block ×16, first 2 shown]
	v_fma_f64 v[12:13], v[12:13], 2.0, -v[4:5]
	v_fma_f64 v[14:15], v[14:15], 2.0, -v[6:7]
	ds_write_b128 v117, v[4:7] offset:32
	v_fma_f64 v[4:5], v[0:1], 2.0, -v[36:37]
	v_fma_f64 v[6:7], v[2:3], 2.0, -v[38:39]
	;; [unrolled: 1-line block ×14, first 2 shown]
	ds_write_b128 v117, v[12:15]
	ds_write_b128 v118, v[8:11]
	ds_write_b128 v118, v[40:43] offset:32
	ds_write_b128 v119, v[20:23]
	ds_write_b128 v119, v[44:47] offset:32
	;; [unrolled: 2-line block ×6, first 2 shown]
	s_and_saveexec_b64 s[2:3], vcc
	s_cbranch_execz .LBB0_27
; %bb.26:
	s_movk_i32 s6, 0x37c
	v_and_or_b32 v0, v73, s6, v75
	v_lshl_add_u32 v0, v0, 4, 0
	ds_write_b128 v0, v[4:7]
	ds_write_b128 v0, v[36:39] offset:32
.LBB0_27:
	s_or_b64 exec, exec, s[2:3]
	s_waitcnt lgkmcnt(0)
	; wave barrier
	s_waitcnt lgkmcnt(0)
	ds_read_b128 v[8:11], v92
	ds_read_b128 v[12:15], v92 offset:896
	ds_read_b128 v[0:3], v92 offset:7616
	;; [unrolled: 1-line block ×13, first 2 shown]
	s_and_saveexec_b64 s[2:3], vcc
	s_cbranch_execz .LBB0_29
; %bb.28:
	ds_read_b128 v[4:7], v92 offset:6272
	ds_read_b128 v[36:39], v92 offset:12992
.LBB0_29:
	s_or_b64 exec, exec, s[2:3]
	v_and_b32_e32 v75, 3, v86
	v_lshlrev_b32_e32 v76, 4, v75
	global_load_dwordx4 v[76:79], v76, s[12:13] offset:32
	s_movk_i32 s3, 0xf8
	s_movk_i32 s6, 0x1f8
	;; [unrolled: 1-line block ×4, first 2 shown]
	v_and_or_b32 v67, v67, s3, v75
	v_and_or_b32 v68, v68, s6, v75
	;; [unrolled: 1-line block ×6, first 2 shown]
	v_lshl_add_u32 v111, v67, 4, 0
	v_lshl_add_u32 v112, v68, 4, 0
	;; [unrolled: 1-line block ×6, first 2 shown]
	s_movk_i32 s2, 0x78
	v_and_or_b32 v74, v74, s2, v75
	v_lshl_add_u32 v74, v74, 4, 0
	s_waitcnt lgkmcnt(0)
	; wave barrier
	s_waitcnt vmcnt(0) lgkmcnt(0)
	v_mul_f64 v[67:68], v[62:63], v[78:79]
	v_mul_f64 v[69:70], v[60:61], v[78:79]
	;; [unrolled: 1-line block ×16, first 2 shown]
	v_fma_f64 v[60:61], v[60:61], v[76:77], -v[67:68]
	v_fma_f64 v[62:63], v[62:63], v[76:77], v[69:70]
	v_fma_f64 v[0:1], v[0:1], v[76:77], -v[71:72]
	v_fma_f64 v[2:3], v[2:3], v[76:77], v[80:81]
	;; [unrolled: 2-line block ×8, first 2 shown]
	v_add_f64 v[36:37], v[8:9], -v[60:61]
	v_add_f64 v[38:39], v[10:11], -v[62:63]
	;; [unrolled: 1-line block ×16, first 2 shown]
	v_fma_f64 v[8:9], v[8:9], 2.0, -v[36:37]
	v_fma_f64 v[10:11], v[10:11], 2.0, -v[38:39]
	v_fma_f64 v[12:13], v[12:13], 2.0, -v[40:41]
	v_fma_f64 v[14:15], v[14:15], 2.0, -v[42:43]
	v_fma_f64 v[20:21], v[20:21], 2.0, -v[44:45]
	v_fma_f64 v[22:23], v[22:23], 2.0, -v[46:47]
	v_fma_f64 v[16:17], v[16:17], 2.0, -v[48:49]
	v_fma_f64 v[18:19], v[18:19], 2.0, -v[50:51]
	v_fma_f64 v[28:29], v[28:29], 2.0, -v[52:53]
	v_fma_f64 v[30:31], v[30:31], 2.0, -v[54:55]
	v_fma_f64 v[24:25], v[24:25], 2.0, -v[56:57]
	v_fma_f64 v[26:27], v[26:27], 2.0, -v[58:59]
	v_fma_f64 v[32:33], v[32:33], 2.0, -v[60:61]
	v_fma_f64 v[34:35], v[34:35], 2.0, -v[62:63]
	ds_write_b128 v74, v[36:39] offset:64
	ds_write_b128 v74, v[8:11]
	ds_write_b128 v111, v[12:15]
	ds_write_b128 v111, v[40:43] offset:64
	ds_write_b128 v112, v[20:23]
	ds_write_b128 v112, v[44:47] offset:64
	;; [unrolled: 2-line block ×6, first 2 shown]
	s_and_saveexec_b64 s[2:3], vcc
	s_cbranch_execz .LBB0_31
; %bb.30:
	v_fma_f64 v[6:7], v[6:7], 2.0, -v[2:3]
	v_fma_f64 v[4:5], v[4:5], 2.0, -v[0:1]
	s_movk_i32 s6, 0x378
	v_and_or_b32 v8, v73, s6, v75
	v_lshl_add_u32 v8, v8, 4, 0
	ds_write_b128 v8, v[4:7]
	ds_write_b128 v8, v[0:3] offset:64
.LBB0_31:
	s_or_b64 exec, exec, s[2:3]
	v_and_b32_e32 v83, 7, v86
	v_lshlrev_b32_e32 v12, 5, v83
	s_waitcnt lgkmcnt(0)
	; wave barrier
	s_waitcnt lgkmcnt(0)
	global_load_dwordx4 v[4:7], v12, s[12:13] offset:96
	global_load_dwordx4 v[8:11], v12, s[12:13] offset:112
	ds_read_b128 v[12:15], v92
	ds_read_b128 v[16:19], v92 offset:896
	ds_read_b128 v[20:23], v92 offset:8960
	;; [unrolled: 1-line block ×14, first 2 shown]
	s_mov_b32 s2, 0xe8584caa
	s_mov_b32 s3, 0x3febb67a
	;; [unrolled: 1-line block ×4, first 2 shown]
	s_waitcnt lgkmcnt(0)
	; wave barrier
	s_waitcnt lgkmcnt(0)
	s_mov_b32 s9, 0xbfee6f0e
	s_mov_b32 s15, 0xbfe2cf23
	;; [unrolled: 1-line block ×4, first 2 shown]
	v_cmp_gt_u32_e32 vcc, 8, v86
	s_waitcnt vmcnt(1)
	v_mul_f64 v[93:94], v[28:29], v[6:7]
	s_waitcnt vmcnt(0)
	v_mul_f64 v[97:98], v[24:25], v[10:11]
	v_mul_f64 v[75:76], v[54:55], v[6:7]
	;; [unrolled: 1-line block ×9, first 2 shown]
	v_fma_f64 v[30:31], v[30:31], v[4:5], v[93:94]
	v_fma_f64 v[26:27], v[26:27], v[8:9], v[97:98]
	v_mul_f64 v[99:100], v[34:35], v[6:7]
	v_mul_f64 v[103:104], v[46:47], v[10:11]
	;; [unrolled: 1-line block ×10, first 2 shown]
	v_fma_f64 v[52:53], v[52:53], v[4:5], -v[75:76]
	v_fma_f64 v[54:55], v[54:55], v[4:5], v[77:78]
	v_fma_f64 v[20:21], v[20:21], v[8:9], -v[79:80]
	v_fma_f64 v[22:23], v[22:23], v[8:9], v[81:82]
	v_fma_f64 v[28:29], v[28:29], v[4:5], -v[90:91]
	v_fma_f64 v[24:25], v[24:25], v[8:9], -v[95:96]
	v_fma_f64 v[34:35], v[34:35], v[4:5], v[101:102]
	v_fma_f64 v[46:47], v[46:47], v[8:9], v[105:106]
	v_add_f64 v[79:80], v[30:31], -v[26:27]
	v_add_f64 v[81:82], v[18:19], v[30:31]
	v_add_f64 v[30:31], v[30:31], v[26:27]
	v_fma_f64 v[32:33], v[32:33], v[4:5], -v[99:100]
	v_fma_f64 v[44:45], v[44:45], v[8:9], -v[103:104]
	;; [unrolled: 1-line block ×4, first 2 shown]
	v_fma_f64 v[50:51], v[50:51], v[8:9], v[113:114]
	v_fma_f64 v[69:70], v[69:70], v[4:5], v[6:7]
	v_fma_f64 v[71:72], v[71:72], v[8:9], -v[117:118]
	v_fma_f64 v[73:74], v[73:74], v[8:9], v[10:11]
	v_add_f64 v[6:7], v[52:53], v[20:21]
	v_add_f64 v[48:49], v[54:55], -v[22:23]
	v_add_f64 v[8:9], v[14:15], v[54:55]
	v_add_f64 v[10:11], v[54:55], v[22:23]
	;; [unrolled: 1-line block ×4, first 2 shown]
	v_add_f64 v[90:91], v[28:29], -v[24:25]
	v_add_f64 v[95:96], v[34:35], -v[46:47]
	v_add_f64 v[97:98], v[38:39], v[34:35]
	v_add_f64 v[34:35], v[34:35], v[46:47]
	v_fma_f64 v[18:19], v[30:31], -0.5, v[18:19]
	v_fma_f64 v[62:63], v[62:63], v[4:5], v[109:110]
	v_fma_f64 v[67:68], v[67:68], v[4:5], -v[115:116]
	v_add_f64 v[4:5], v[12:13], v[52:53]
	v_add_f64 v[52:53], v[52:53], -v[20:21]
	v_add_f64 v[28:29], v[36:37], v[32:33]
	v_add_f64 v[93:94], v[32:33], v[44:45]
	v_add_f64 v[99:100], v[32:33], -v[44:45]
	v_add_f64 v[32:33], v[40:41], v[60:61]
	v_add_f64 v[101:102], v[60:61], v[75:76]
	v_fma_f64 v[109:110], v[6:7], -0.5, v[12:13]
	v_add_f64 v[6:7], v[8:9], v[22:23]
	v_fma_f64 v[111:112], v[10:11], -0.5, v[14:15]
	;; [unrolled: 2-line block ×4, first 2 shown]
	v_fma_f64 v[30:31], v[90:91], s[6:7], v[18:19]
	v_fma_f64 v[34:35], v[90:91], s[2:3], v[18:19]
	v_add_f64 v[18:19], v[69:70], v[73:74]
	v_add_f64 v[103:104], v[62:63], -v[50:51]
	v_add_f64 v[105:106], v[62:63], v[50:51]
	v_add_f64 v[107:108], v[67:68], v[71:72]
	;; [unrolled: 1-line block ×5, first 2 shown]
	v_fma_f64 v[77:78], v[101:102], -0.5, v[40:41]
	v_fma_f64 v[22:23], v[52:53], s[6:7], v[111:112]
	v_fma_f64 v[26:27], v[52:53], s[2:3], v[111:112]
	;; [unrolled: 1-line block ×4, first 2 shown]
	v_add_f64 v[52:53], v[42:43], v[62:63]
	v_add_f64 v[62:63], v[56:57], v[67:68]
	v_fma_f64 v[79:80], v[18:19], -0.5, v[58:59]
	v_add_f64 v[67:68], v[67:68], -v[71:72]
	v_add_f64 v[4:5], v[4:5], v[20:21]
	v_fma_f64 v[44:45], v[93:94], -0.5, v[36:37]
	v_fma_f64 v[20:21], v[48:49], s[2:3], v[109:110]
	v_fma_f64 v[24:25], v[48:49], s[6:7], v[109:110]
	;; [unrolled: 1-line block ×4, first 2 shown]
	v_add_f64 v[77:78], v[69:70], -v[73:74]
	v_add_f64 v[69:70], v[58:59], v[69:70]
	v_add_f64 v[18:19], v[52:53], v[50:51]
	;; [unrolled: 1-line block ×3, first 2 shown]
	v_fma_f64 v[58:59], v[67:68], s[6:7], v[79:80]
	v_fma_f64 v[62:63], v[67:68], s[2:3], v[79:80]
	v_lshrrev_b32_e32 v67, 3, v86
	v_fma_f64 v[54:55], v[105:106], -0.5, v[42:43]
	v_add_f64 v[60:61], v[60:61], -v[75:76]
	v_mul_u32_u24_e32 v67, 24, v67
	v_or_b32_e32 v67, v67, v83
	v_lshl_add_u32 v67, v67, 4, 0
	ds_write_b128 v67, v[4:7]
	ds_write_b128 v67, v[20:23] offset:128
	ds_write_b128 v67, v[24:27] offset:256
	v_lshrrev_b32_e32 v4, 3, v64
	v_fma_f64 v[36:37], v[95:96], s[2:3], v[44:45]
	v_fma_f64 v[38:39], v[99:100], s[6:7], v[46:47]
	v_fma_f64 v[75:76], v[107:108], -0.5, v[56:57]
	v_mul_u32_u24_e32 v4, 24, v4
	v_fma_f64 v[44:45], v[95:96], s[6:7], v[44:45]
	v_fma_f64 v[46:47], v[99:100], s[2:3], v[46:47]
	v_or_b32_e32 v4, v4, v83
	v_lshl_add_u32 v4, v4, 4, 0
	ds_write_b128 v4, v[8:11]
	ds_write_b128 v4, v[28:31] offset:128
	ds_write_b128 v4, v[32:35] offset:256
	v_lshrrev_b32_e32 v4, 3, v87
	v_fma_f64 v[42:43], v[60:61], s[6:7], v[54:55]
	v_mul_u32_u24_e32 v4, 24, v4
	v_fma_f64 v[50:51], v[60:61], s[2:3], v[54:55]
	v_or_b32_e32 v4, v4, v83
	v_lshl_add_u32 v4, v4, 4, 0
	v_add_f64 v[54:55], v[69:70], v[73:74]
	ds_write_b128 v4, v[12:15]
	ds_write_b128 v4, v[36:39] offset:128
	ds_write_b128 v4, v[44:47] offset:256
	v_lshrrev_b32_e32 v4, 3, v65
	v_fma_f64 v[56:57], v[77:78], s[2:3], v[75:76]
	v_mul_u32_u24_e32 v4, 24, v4
	v_fma_f64 v[60:61], v[77:78], s[6:7], v[75:76]
	v_or_b32_e32 v4, v4, v83
	v_lshl_add_u32 v4, v4, 4, 0
	ds_write_b128 v4, v[16:19]
	ds_write_b128 v4, v[40:43] offset:128
	ds_write_b128 v4, v[48:51] offset:256
	v_lshrrev_b32_e32 v4, 3, v66
	v_mul_u32_u24_e32 v4, 24, v4
	v_or_b32_e32 v4, v4, v83
	v_lshl_add_u32 v4, v4, 4, 0
	s_movk_i32 s2, 0xab
	ds_write_b128 v4, v[52:55]
	ds_write_b128 v4, v[56:59] offset:128
	ds_write_b128 v4, v[60:63] offset:256
	v_mul_lo_u16_sdwa v4, v86, s2 dst_sel:DWORD dst_unused:UNUSED_PAD src0_sel:BYTE_0 src1_sel:DWORD
	v_lshrrev_b16_e32 v8, 12, v4
	v_mul_lo_u16_e32 v4, 24, v8
	v_sub_u16_e32 v9, v86, v4
	v_mov_b32_e32 v42, 6
	v_lshlrev_b32_sdwa v10, v42, v9 dst_sel:DWORD dst_unused:UNUSED_PAD src0_sel:DWORD src1_sel:BYTE_0
	s_waitcnt lgkmcnt(0)
	; wave barrier
	s_waitcnt lgkmcnt(0)
	global_load_dwordx4 v[4:7], v10, s[12:13] offset:352
	global_load_dwordx4 v[14:17], v10, s[12:13] offset:368
	;; [unrolled: 1-line block ×4, first 2 shown]
	v_mul_lo_u16_sdwa v10, v64, s2 dst_sel:DWORD dst_unused:UNUSED_PAD src0_sel:BYTE_0 src1_sel:DWORD
	v_lshrrev_b16_e32 v10, 12, v10
	v_mul_lo_u16_e32 v11, 24, v10
	v_sub_u16_e32 v11, v64, v11
	v_lshlrev_b32_sdwa v12, v42, v11 dst_sel:DWORD dst_unused:UNUSED_PAD src0_sel:DWORD src1_sel:BYTE_0
	global_load_dwordx4 v[26:29], v12, s[12:13] offset:352
	global_load_dwordx4 v[30:33], v12, s[12:13] offset:368
	;; [unrolled: 1-line block ×4, first 2 shown]
	v_mul_lo_u16_sdwa v12, v87, s2 dst_sel:DWORD dst_unused:UNUSED_PAD src0_sel:BYTE_0 src1_sel:DWORD
	v_lshrrev_b16_e32 v12, 12, v12
	v_mul_lo_u16_e32 v13, 24, v12
	v_sub_u16_e32 v13, v87, v13
	v_lshlrev_b32_sdwa v58, v42, v13 dst_sel:DWORD dst_unused:UNUSED_PAD src0_sel:DWORD src1_sel:BYTE_0
	global_load_dwordx4 v[42:45], v58, s[12:13] offset:352
	global_load_dwordx4 v[46:49], v58, s[12:13] offset:368
	;; [unrolled: 1-line block ×4, first 2 shown]
	ds_read_b128 v[58:61], v92 offset:2688
	ds_read_b128 v[62:65], v92
	ds_read_b128 v[66:69], v92 offset:896
	ds_read_b128 v[70:73], v92 offset:5376
	;; [unrolled: 1-line block ×10, first 2 shown]
	s_mov_b32 s2, 0x134454ff
	s_mov_b32 s3, 0x3fee6f0e
	;; [unrolled: 1-line block ×6, first 2 shown]
	v_mul_u32_u24_e32 v8, 0x780, v8
	s_waitcnt vmcnt(11) lgkmcnt(11)
	v_mul_f64 v[82:83], v[60:61], v[6:7]
	v_mul_f64 v[6:7], v[58:59], v[6:7]
	s_waitcnt vmcnt(9) lgkmcnt(1)
	v_mul_f64 v[119:120], v[111:112], v[20:21]
	v_mul_f64 v[20:21], v[109:110], v[20:21]
	;; [unrolled: 1-line block ×3, first 2 shown]
	s_waitcnt vmcnt(8)
	v_mul_f64 v[121:122], v[95:96], v[24:25]
	v_mul_f64 v[24:25], v[93:94], v[24:25]
	;; [unrolled: 1-line block ×3, first 2 shown]
	v_fma_f64 v[82:83], v[58:59], v[4:5], -v[82:83]
	v_fma_f64 v[90:91], v[60:61], v[4:5], v[6:7]
	v_fma_f64 v[109:110], v[109:110], v[18:19], -v[119:120]
	v_fma_f64 v[20:21], v[111:112], v[18:19], v[20:21]
	s_waitcnt vmcnt(7)
	v_mul_f64 v[18:19], v[103:104], v[28:29]
	ds_read_b128 v[4:7], v92 offset:8960
	ds_read_b128 v[58:61], v92 offset:9856
	v_fma_f64 v[70:71], v[70:71], v[14:15], -v[117:118]
	v_fma_f64 v[93:94], v[93:94], v[22:23], -v[121:122]
	v_fma_f64 v[24:25], v[95:96], v[22:23], v[24:25]
	v_mul_f64 v[22:23], v[101:102], v[28:29]
	s_waitcnt vmcnt(6)
	v_mul_f64 v[28:29], v[76:77], v[32:33]
	v_mul_f64 v[32:33], v[74:75], v[32:33]
	s_waitcnt vmcnt(5) lgkmcnt(1)
	v_mul_f64 v[95:96], v[6:7], v[36:37]
	v_mul_f64 v[36:37], v[4:5], v[36:37]
	v_fma_f64 v[101:102], v[101:102], v[26:27], -v[18:19]
	s_waitcnt vmcnt(4)
	v_mul_f64 v[18:19], v[99:100], v[40:41]
	v_mul_f64 v[40:41], v[97:98], v[40:41]
	v_fma_f64 v[103:104], v[103:104], v[26:27], v[22:23]
	v_fma_f64 v[74:75], v[74:75], v[30:31], -v[28:29]
	v_fma_f64 v[76:77], v[76:77], v[30:31], v[32:33]
	s_waitcnt vmcnt(3)
	v_mul_f64 v[22:23], v[107:108], v[44:45]
	v_fma_f64 v[6:7], v[6:7], v[34:35], v[36:37]
	s_waitcnt vmcnt(2)
	v_mul_f64 v[26:27], v[115:116], v[48:49]
	v_fma_f64 v[36:37], v[97:98], v[38:39], -v[18:19]
	v_mul_f64 v[18:19], v[105:106], v[44:45]
	v_add_f64 v[28:29], v[62:63], v[82:83]
	v_add_f64 v[32:33], v[70:71], v[109:110]
	v_fma_f64 v[72:73], v[72:73], v[14:15], v[16:17]
	v_fma_f64 v[4:5], v[4:5], v[34:35], -v[95:96]
	v_fma_f64 v[40:41], v[99:100], v[38:39], v[40:41]
	v_mul_f64 v[30:31], v[113:114], v[48:49]
	v_fma_f64 v[95:96], v[105:106], v[42:43], -v[22:23]
	s_waitcnt vmcnt(1) lgkmcnt(0)
	v_mul_f64 v[22:23], v[60:61], v[52:53]
	v_mul_f64 v[34:35], v[58:59], v[52:53]
	v_fma_f64 v[97:98], v[107:108], v[42:43], v[18:19]
	v_fma_f64 v[99:100], v[113:114], v[46:47], -v[26:27]
	v_add_f64 v[18:19], v[28:29], v[70:71]
	v_fma_f64 v[26:27], v[32:33], -0.5, v[62:63]
	v_add_f64 v[28:29], v[90:91], -v[24:25]
	ds_read_b128 v[14:17], v92 offset:12544
	v_fma_f64 v[105:106], v[115:116], v[46:47], v[30:31]
	v_fma_f64 v[107:108], v[58:59], v[50:51], -v[22:23]
	v_fma_f64 v[60:61], v[60:61], v[50:51], v[34:35]
	v_add_f64 v[34:35], v[72:73], -v[20:21]
	s_waitcnt vmcnt(0) lgkmcnt(0)
	v_mul_f64 v[22:23], v[16:17], v[56:57]
	v_mul_f64 v[30:31], v[14:15], v[56:57]
	v_add_f64 v[18:19], v[18:19], v[109:110]
	v_fma_f64 v[32:33], v[28:29], s[2:3], v[26:27]
	v_add_f64 v[38:39], v[82:83], v[93:94]
	v_add_f64 v[42:43], v[82:83], -v[70:71]
	v_add_f64 v[44:45], v[93:94], -v[109:110]
	v_fma_f64 v[26:27], v[28:29], s[8:9], v[26:27]
	v_fma_f64 v[56:57], v[14:15], v[54:55], -v[22:23]
	v_fma_f64 v[111:112], v[16:17], v[54:55], v[30:31]
	v_add_f64 v[14:15], v[18:19], v[93:94]
	v_fma_f64 v[18:19], v[34:35], s[6:7], v[32:33]
	v_fma_f64 v[16:17], v[38:39], -0.5, v[62:63]
	v_add_f64 v[30:31], v[64:65], v[90:91]
	v_add_f64 v[32:33], v[72:73], v[20:21]
	;; [unrolled: 1-line block ×3, first 2 shown]
	v_add_f64 v[42:43], v[70:71], -v[82:83]
	v_add_f64 v[44:45], v[109:110], -v[93:94]
	;; [unrolled: 1-line block ×3, first 2 shown]
	v_fma_f64 v[26:27], v[34:35], s[14:15], v[26:27]
	v_fma_f64 v[38:39], v[34:35], s[8:9], v[16:17]
	;; [unrolled: 1-line block ×3, first 2 shown]
	v_add_f64 v[30:31], v[30:31], v[72:73]
	v_fma_f64 v[32:33], v[32:33], -0.5, v[64:65]
	v_add_f64 v[48:49], v[70:71], -v[109:110]
	v_fma_f64 v[18:19], v[22:23], s[16:17], v[18:19]
	v_add_f64 v[50:51], v[74:75], v[4:5]
	v_fma_f64 v[22:23], v[22:23], s[16:17], v[26:27]
	v_fma_f64 v[34:35], v[28:29], s[6:7], v[38:39]
	v_add_f64 v[38:39], v[42:43], v[44:45]
	v_fma_f64 v[16:17], v[28:29], s[14:15], v[16:17]
	v_add_f64 v[28:29], v[30:31], v[20:21]
	;; [unrolled: 2-line block ×3, first 2 shown]
	v_fma_f64 v[32:33], v[46:47], s[2:3], v[32:33]
	v_add_f64 v[54:55], v[72:73], -v[90:91]
	v_add_f64 v[58:59], v[76:77], -v[6:7]
	v_fma_f64 v[26:27], v[38:39], s[16:17], v[34:35]
	v_fma_f64 v[30:31], v[38:39], s[16:17], v[16:17]
	v_add_f64 v[16:17], v[28:29], v[24:25]
	v_fma_f64 v[28:29], v[48:49], s[14:15], v[42:43]
	v_fma_f64 v[34:35], v[44:45], -0.5, v[64:65]
	v_add_f64 v[38:39], v[90:91], -v[72:73]
	v_add_f64 v[42:43], v[24:25], -v[20:21]
	v_add_f64 v[44:45], v[66:67], v[101:102]
	v_add_f64 v[20:21], v[20:21], -v[24:25]
	v_fma_f64 v[32:33], v[48:49], s[6:7], v[32:33]
	v_add_f64 v[64:65], v[74:75], -v[101:102]
	v_add_f64 v[70:71], v[103:104], -v[76:77]
	v_fma_f64 v[52:53], v[48:49], s[2:3], v[34:35]
	v_fma_f64 v[24:25], v[48:49], s[8:9], v[34:35]
	v_add_f64 v[34:35], v[38:39], v[42:43]
	v_add_f64 v[38:39], v[44:45], v[74:75]
	v_fma_f64 v[42:43], v[50:51], -0.5, v[66:67]
	v_add_f64 v[44:45], v[103:104], -v[40:41]
	v_add_f64 v[50:51], v[54:55], v[20:21]
	v_add_f64 v[72:73], v[40:41], -v[6:7]
	v_fma_f64 v[48:49], v[46:47], s[14:15], v[52:53]
	v_fma_f64 v[46:47], v[46:47], s[6:7], v[24:25]
	v_add_f64 v[52:53], v[101:102], v[36:37]
	v_add_f64 v[38:39], v[38:39], v[4:5]
	v_fma_f64 v[20:21], v[34:35], s[16:17], v[28:29]
	v_fma_f64 v[24:25], v[34:35], s[16:17], v[32:33]
	;; [unrolled: 1-line block ×6, first 2 shown]
	v_fma_f64 v[46:47], v[52:53], -0.5, v[66:67]
	v_add_f64 v[34:35], v[38:39], v[36:37]
	v_add_f64 v[38:39], v[101:102], -v[74:75]
	v_add_f64 v[48:49], v[36:37], -v[4:5]
	v_add_f64 v[52:53], v[68:69], v[103:104]
	v_fma_f64 v[50:51], v[58:59], s[6:7], v[54:55]
	v_add_f64 v[54:55], v[76:77], v[6:7]
	v_add_f64 v[66:67], v[4:5], -v[36:37]
	v_fma_f64 v[62:63], v[58:59], s[8:9], v[46:47]
	v_fma_f64 v[42:43], v[58:59], s[14:15], v[42:43]
	;; [unrolled: 1-line block ×3, first 2 shown]
	v_add_f64 v[48:49], v[38:39], v[48:49]
	v_add_f64 v[52:53], v[52:53], v[76:77]
	v_add_f64 v[58:59], v[101:102], -v[36:37]
	v_fma_f64 v[54:55], v[54:55], -0.5, v[68:69]
	v_add_f64 v[4:5], v[74:75], -v[4:5]
	v_fma_f64 v[36:37], v[44:45], s[6:7], v[62:63]
	v_add_f64 v[62:63], v[64:65], v[66:67]
	v_fma_f64 v[44:45], v[44:45], s[14:15], v[46:47]
	v_fma_f64 v[38:39], v[48:49], s[16:17], v[50:51]
	;; [unrolled: 1-line block ×3, first 2 shown]
	v_add_f64 v[48:49], v[52:53], v[6:7]
	v_add_f64 v[52:53], v[103:104], v[40:41]
	v_fma_f64 v[64:65], v[58:59], s[8:9], v[54:55]
	v_add_f64 v[66:67], v[99:100], v[107:108]
	v_fma_f64 v[54:55], v[58:59], s[2:3], v[54:55]
	v_fma_f64 v[50:51], v[62:63], s[16:17], v[44:45]
	;; [unrolled: 1-line block ×3, first 2 shown]
	v_add_f64 v[6:7], v[6:7], -v[40:41]
	v_add_f64 v[36:37], v[48:49], v[40:41]
	v_fma_f64 v[44:45], v[52:53], -0.5, v[68:69]
	v_add_f64 v[52:53], v[78:79], v[95:96]
	v_fma_f64 v[48:49], v[4:5], s[14:15], v[64:65]
	v_fma_f64 v[62:63], v[66:67], -0.5, v[78:79]
	v_add_f64 v[64:65], v[97:98], -v[111:112]
	v_add_f64 v[66:67], v[70:71], v[72:73]
	v_add_f64 v[70:71], v[76:77], -v[103:104]
	v_add_f64 v[72:73], v[105:106], -v[60:61]
	v_fma_f64 v[68:69], v[4:5], s[2:3], v[44:45]
	v_fma_f64 v[40:41], v[4:5], s[8:9], v[44:45]
	v_add_f64 v[44:45], v[52:53], v[99:100]
	v_fma_f64 v[4:5], v[4:5], s[6:7], v[54:55]
	v_fma_f64 v[52:53], v[64:65], s[2:3], v[62:63]
	v_add_f64 v[74:75], v[95:96], -v[99:100]
	v_add_f64 v[76:77], v[56:57], -v[107:108]
	v_add_f64 v[6:7], v[70:71], v[6:7]
	v_fma_f64 v[68:69], v[58:59], s[14:15], v[68:69]
	v_add_f64 v[54:55], v[95:96], v[56:57]
	v_fma_f64 v[58:59], v[58:59], s[6:7], v[40:41]
	;; [unrolled: 2-line block ×5, first 2 shown]
	v_fma_f64 v[48:49], v[6:7], s[16:17], v[68:69]
	v_add_f64 v[68:69], v[97:98], v[111:112]
	v_fma_f64 v[76:77], v[54:55], -0.5, v[78:79]
	v_fma_f64 v[52:53], v[6:7], s[16:17], v[58:59]
	v_add_f64 v[54:55], v[70:71], v[56:57]
	v_fma_f64 v[6:7], v[64:65], s[8:9], v[62:63]
	v_add_f64 v[66:67], v[99:100], -v[95:96]
	v_add_f64 v[70:71], v[107:108], -v[56:57]
	v_add_f64 v[78:79], v[80:81], v[97:98]
	v_fma_f64 v[4:5], v[4:5], -0.5, v[80:81]
	v_add_f64 v[56:57], v[95:96], -v[56:57]
	v_fma_f64 v[58:59], v[74:75], s[16:17], v[82:83]
	v_add_f64 v[82:83], v[99:100], -v[107:108]
	v_fma_f64 v[68:69], v[68:69], -0.5, v[80:81]
	v_fma_f64 v[62:63], v[72:73], s[8:9], v[76:77]
	v_fma_f64 v[6:7], v[72:73], s[14:15], v[6:7]
	v_add_f64 v[66:67], v[66:67], v[70:71]
	v_fma_f64 v[70:71], v[72:73], s[2:3], v[76:77]
	v_add_f64 v[72:73], v[78:79], v[105:106]
	v_fma_f64 v[76:77], v[56:57], s[8:9], v[4:5]
	v_add_f64 v[78:79], v[97:98], -v[105:106]
	v_add_f64 v[80:81], v[111:112], -v[60:61]
	v_fma_f64 v[90:91], v[82:83], s[2:3], v[68:69]
	v_add_f64 v[93:94], v[105:106], -v[97:98]
	v_add_f64 v[95:96], v[60:61], -v[111:112]
	v_fma_f64 v[68:69], v[82:83], s[8:9], v[68:69]
	v_fma_f64 v[4:5], v[56:57], s[2:3], v[4:5]
	v_add_f64 v[60:61], v[72:73], v[60:61]
	v_fma_f64 v[62:63], v[64:65], s[6:7], v[62:63]
	v_fma_f64 v[64:65], v[64:65], s[14:15], v[70:71]
	;; [unrolled: 1-line block ×3, first 2 shown]
	v_add_f64 v[72:73], v[78:79], v[80:81]
	v_fma_f64 v[78:79], v[56:57], s[14:15], v[90:91]
	v_add_f64 v[80:81], v[93:94], v[95:96]
	v_fma_f64 v[68:69], v[56:57], s[6:7], v[68:69]
	v_fma_f64 v[76:77], v[82:83], s[6:7], v[4:5]
	v_add_f64 v[56:57], v[60:61], v[111:112]
	v_fma_f64 v[62:63], v[66:67], s[16:17], v[62:63]
	v_fma_f64 v[66:67], v[66:67], s[16:17], v[64:65]
	;; [unrolled: 1-line block ×3, first 2 shown]
	v_mov_b32_e32 v70, 4
	v_fma_f64 v[64:65], v[80:81], s[16:17], v[78:79]
	v_lshlrev_b32_sdwa v9, v70, v9 dst_sel:DWORD dst_unused:UNUSED_PAD src0_sel:DWORD src1_sel:BYTE_0
	v_fma_f64 v[68:69], v[80:81], s[16:17], v[68:69]
	v_add3_u32 v8, 0, v8, v9
	v_fma_f64 v[4:5], v[74:75], s[16:17], v[6:7]
	v_fma_f64 v[6:7], v[72:73], s[16:17], v[76:77]
	s_waitcnt lgkmcnt(0)
	; wave barrier
	ds_write_b128 v8, v[14:17]
	ds_write_b128 v8, v[18:21] offset:384
	ds_write_b128 v8, v[26:29] offset:768
	;; [unrolled: 1-line block ×4, first 2 shown]
	v_mul_u32_u24_e32 v8, 0x780, v10
	v_lshlrev_b32_sdwa v9, v70, v11 dst_sel:DWORD dst_unused:UNUSED_PAD src0_sel:DWORD src1_sel:BYTE_0
	v_add3_u32 v8, 0, v8, v9
	ds_write_b128 v8, v[34:37]
	ds_write_b128 v8, v[38:41] offset:384
	ds_write_b128 v8, v[46:49] offset:768
	ds_write_b128 v8, v[50:53] offset:1152
	ds_write_b128 v8, v[42:45] offset:1536
	v_mul_u32_u24_e32 v8, 0x780, v12
	v_lshlrev_b32_sdwa v9, v70, v13 dst_sel:DWORD dst_unused:UNUSED_PAD src0_sel:DWORD src1_sel:BYTE_0
	v_add3_u32 v8, 0, v8, v9
	ds_write_b128 v8, v[54:57]
	ds_write_b128 v8, v[58:61] offset:384
	ds_write_b128 v8, v[62:65] offset:768
	;; [unrolled: 1-line block ×4, first 2 shown]
	s_waitcnt lgkmcnt(0)
	; wave barrier
	s_waitcnt lgkmcnt(0)
	ds_read_b128 v[32:35], v92
	ds_read_b128 v[28:31], v92 offset:896
	ds_read_b128 v[80:83], v92 offset:1920
	;; [unrolled: 1-line block ×13, first 2 shown]
                                        ; implicit-def: $vgpr26_vgpr27
                                        ; implicit-def: $vgpr22_vgpr23
                                        ; implicit-def: $vgpr18_vgpr19
                                        ; implicit-def: $vgpr14_vgpr15
                                        ; implicit-def: $vgpr10_vgpr11
	s_and_saveexec_b64 s[2:3], vcc
	s_cbranch_execz .LBB0_33
; %bb.32:
	ds_read_b128 v[4:7], v92 offset:1792
	ds_read_b128 v[0:3], v92 offset:3712
	;; [unrolled: 1-line block ×7, first 2 shown]
.LBB0_33:
	s_or_b64 exec, exec, s[2:3]
	v_mul_u32_u24_e32 v90, 6, v86
	v_lshlrev_b32_e32 v90, 4, v90
	v_add_co_u32_e64 v111, s[2:3], s12, v90
	v_mov_b32_e32 v93, s13
	v_addc_co_u32_e64 v112, s[2:3], 0, v93, s[2:3]
	global_load_dwordx4 v[93:96], v90, s[12:13] offset:1936
	global_load_dwordx4 v[97:100], v90, s[12:13] offset:1920
	;; [unrolled: 1-line block ×4, first 2 shown]
	s_movk_i32 s2, 0x1500
	v_add_co_u32_e64 v111, s[2:3], s2, v111
	v_addc_co_u32_e64 v112, s[2:3], 0, v112, s[2:3]
	s_mov_b32 s2, 0x37e14327
	s_mov_b32 s6, 0x36b3c0b5
	;; [unrolled: 1-line block ×20, first 2 shown]
	v_mov_b32_e32 v91, 0
	s_waitcnt vmcnt(0) lgkmcnt(11)
	v_mul_f64 v[109:110], v[82:83], v[107:108]
	v_fma_f64 v[109:110], v[80:81], v[105:106], -v[109:110]
	v_mul_f64 v[80:81], v[80:81], v[107:108]
	v_fma_f64 v[80:81], v[82:83], v[105:106], v[80:81]
	s_waitcnt lgkmcnt(9)
	v_mul_f64 v[82:83], v[78:79], v[103:104]
	v_fma_f64 v[82:83], v[76:77], v[101:102], -v[82:83]
	v_mul_f64 v[76:77], v[76:77], v[103:104]
	v_fma_f64 v[78:79], v[78:79], v[101:102], v[76:77]
	s_waitcnt lgkmcnt(7)
	;; [unrolled: 5-line block ×3, first 2 shown]
	v_mul_f64 v[72:73], v[70:71], v[95:96]
	v_fma_f64 v[99:100], v[68:69], v[93:94], -v[72:73]
	v_mul_f64 v[68:69], v[68:69], v[95:96]
	v_fma_f64 v[93:94], v[70:71], v[93:94], v[68:69]
	global_load_dwordx4 v[68:71], v90, s[12:13] offset:1968
	global_load_dwordx4 v[72:75], v90, s[12:13] offset:1952
	s_waitcnt vmcnt(0) lgkmcnt(3)
	v_mul_f64 v[76:77], v[66:67], v[74:75]
	v_fma_f64 v[95:96], v[64:65], v[72:73], -v[76:77]
	v_mul_f64 v[64:65], v[64:65], v[74:75]
	v_fma_f64 v[103:104], v[66:67], v[72:73], v[64:65]
	s_waitcnt lgkmcnt(1)
	v_mul_f64 v[64:65], v[62:63], v[70:71]
	v_fma_f64 v[105:106], v[60:61], v[68:69], -v[64:65]
	v_mul_f64 v[60:61], v[60:61], v[70:71]
	v_fma_f64 v[107:108], v[62:63], v[68:69], v[60:61]
	global_load_dwordx4 v[62:65], v[111:112], off offset:1936
	global_load_dwordx4 v[66:69], v[111:112], off offset:1920
	;; [unrolled: 1-line block ×4, first 2 shown]
	s_waitcnt vmcnt(0)
	v_mul_f64 v[60:61], v[58:59], v[76:77]
	v_fma_f64 v[60:61], v[56:57], v[74:75], -v[60:61]
	v_mul_f64 v[56:57], v[56:57], v[76:77]
	v_add_f64 v[76:77], v[93:94], -v[97:98]
	v_fma_f64 v[58:59], v[58:59], v[74:75], v[56:57]
	v_mul_f64 v[56:57], v[54:55], v[72:73]
	v_add_f64 v[74:75], v[99:100], -v[101:102]
	v_fma_f64 v[56:57], v[52:53], v[70:71], -v[56:57]
	v_mul_f64 v[52:53], v[52:53], v[72:73]
	v_add_f64 v[72:73], v[97:98], v[93:94]
	v_fma_f64 v[54:55], v[54:55], v[70:71], v[52:53]
	v_mul_f64 v[52:53], v[50:51], v[68:69]
	v_add_f64 v[70:71], v[101:102], v[99:100]
	v_fma_f64 v[52:53], v[48:49], v[66:67], -v[52:53]
	v_mul_f64 v[48:49], v[48:49], v[68:69]
	v_fma_f64 v[48:49], v[50:51], v[66:67], v[48:49]
	v_mul_f64 v[50:51], v[46:47], v[64:65]
	v_fma_f64 v[50:51], v[44:45], v[62:63], -v[50:51]
	v_mul_f64 v[44:45], v[44:45], v[64:65]
	v_fma_f64 v[44:45], v[46:47], v[62:63], v[44:45]
	global_load_dwordx4 v[62:65], v[111:112], off offset:1968
	global_load_dwordx4 v[66:69], v[111:112], off offset:1952
	s_waitcnt lgkmcnt(0)
	; wave barrier
	s_waitcnt vmcnt(0) lgkmcnt(0)
	v_mul_f64 v[46:47], v[42:43], v[68:69]
	v_fma_f64 v[46:47], v[40:41], v[66:67], -v[46:47]
	v_mul_f64 v[40:41], v[40:41], v[68:69]
	v_add_f64 v[68:69], v[78:79], -v[103:104]
	v_fma_f64 v[111:112], v[42:43], v[66:67], v[40:41]
	v_mul_f64 v[40:41], v[38:39], v[64:65]
	v_add_f64 v[42:43], v[80:81], -v[107:108]
	v_add_f64 v[66:67], v[82:83], -v[95:96]
	v_add_f64 v[97:98], v[76:77], v[68:69]
	v_add_f64 v[101:102], v[76:77], -v[68:69]
	v_fma_f64 v[113:114], v[36:37], v[62:63], -v[40:41]
	v_mul_f64 v[36:37], v[36:37], v[64:65]
	v_add_f64 v[64:65], v[78:79], v[103:104]
	v_add_f64 v[40:41], v[109:110], -v[105:106]
	v_add_f64 v[99:100], v[74:75], -v[66:67]
	;; [unrolled: 1-line block ×4, first 2 shown]
	v_add_f64 v[42:43], v[97:98], v[42:43]
	v_mul_f64 v[97:98], v[101:102], s[16:17]
	v_fma_f64 v[115:116], v[38:39], v[62:63], v[36:37]
	v_add_f64 v[36:37], v[109:110], v[105:106]
	v_add_f64 v[38:39], v[80:81], v[107:108]
	;; [unrolled: 1-line block ×4, first 2 shown]
	v_add_f64 v[66:67], v[66:67], -v[40:41]
	v_add_f64 v[74:75], v[40:41], -v[74:75]
	v_mul_f64 v[101:102], v[68:69], s[8:9]
	v_fma_f64 v[68:69], v[68:69], s[8:9], -v[97:98]
	v_add_f64 v[80:81], v[64:65], v[38:39]
	v_add_f64 v[78:79], v[62:63], v[36:37]
	v_add_f64 v[82:83], v[62:63], -v[36:37]
	v_add_f64 v[93:94], v[64:65], -v[38:39]
	v_add_f64 v[36:37], v[36:37], -v[70:71]
	v_add_f64 v[38:39], v[38:39], -v[72:73]
	v_add_f64 v[62:63], v[70:71], -v[62:63]
	v_add_f64 v[64:65], v[72:73], -v[64:65]
	v_add_f64 v[72:73], v[72:73], v[80:81]
	v_add_f64 v[70:71], v[70:71], v[78:79]
	;; [unrolled: 1-line block ×3, first 2 shown]
	v_mul_f64 v[95:96], v[99:100], s[16:17]
	v_mul_f64 v[36:37], v[36:37], s[2:3]
	;; [unrolled: 1-line block ×5, first 2 shown]
	v_add_f64 v[34:35], v[34:35], v[72:73]
	v_add_f64 v[32:33], v[32:33], v[70:71]
	v_mul_f64 v[99:100], v[66:67], s[8:9]
	v_fma_f64 v[66:67], v[66:67], s[8:9], -v[95:96]
	v_fma_f64 v[62:63], v[62:63], s[6:7], v[36:37]
	v_fma_f64 v[64:65], v[64:65], s[6:7], v[38:39]
	v_fma_f64 v[78:79], v[82:83], s[18:19], -v[78:79]
	v_fma_f64 v[80:81], v[93:94], s[18:19], -v[80:81]
	v_fma_f64 v[72:73], v[72:73], s[14:15], v[34:35]
	v_fma_f64 v[70:71], v[70:71], s[14:15], v[32:33]
	v_fma_f64 v[36:37], v[82:83], s[22:23], -v[36:37]
	;; [unrolled: 4-line block ×3, first 2 shown]
	v_fma_f64 v[76:77], v[76:77], s[26:27], -v[101:102]
	v_add_f64 v[97:98], v[64:65], v[72:73]
	v_add_f64 v[95:96], v[62:63], v[70:71]
	v_add_f64 v[78:79], v[78:79], v[70:71]
	v_add_f64 v[80:81], v[80:81], v[72:73]
	v_add_f64 v[70:71], v[36:37], v[70:71]
	v_add_f64 v[72:73], v[38:39], v[72:73]
	v_fma_f64 v[82:83], v[40:41], s[20:21], v[82:83]
	v_fma_f64 v[93:94], v[42:43], s[20:21], v[93:94]
	;; [unrolled: 1-line block ×6, first 2 shown]
	v_add_f64 v[38:39], v[97:98], -v[82:83]
	v_add_f64 v[36:37], v[93:94], v[95:96]
	v_add_f64 v[64:65], v[99:100], v[80:81]
	v_add_f64 v[62:63], v[78:79], -v[66:67]
	v_add_f64 v[42:43], v[72:73], -v[74:75]
	v_add_f64 v[40:41], v[76:77], v[70:71]
	v_add_f64 v[66:67], v[66:67], v[78:79]
	v_add_f64 v[68:69], v[80:81], -v[99:100]
	v_add_f64 v[70:71], v[70:71], -v[76:77]
	v_add_f64 v[72:73], v[74:75], v[72:73]
	v_add_f64 v[74:75], v[95:96], -v[93:94]
	v_add_f64 v[76:77], v[82:83], v[97:98]
	v_add_f64 v[78:79], v[60:61], v[113:114]
	;; [unrolled: 1-line block ×5, first 2 shown]
	v_add_f64 v[60:61], v[60:61], -v[113:114]
	v_add_f64 v[58:59], v[58:59], -v[115:116]
	;; [unrolled: 1-line block ×4, first 2 shown]
	v_add_f64 v[56:57], v[52:53], v[50:51]
	v_add_f64 v[95:96], v[48:49], v[44:45]
	v_add_f64 v[50:51], v[50:51], -v[52:53]
	v_add_f64 v[44:45], v[44:45], -v[48:49]
	v_add_f64 v[48:49], v[82:83], v[78:79]
	v_add_f64 v[52:53], v[93:94], v[80:81]
	v_add_f64 v[97:98], v[82:83], -v[78:79]
	v_add_f64 v[99:100], v[93:94], -v[80:81]
	;; [unrolled: 1-line block ×6, first 2 shown]
	v_add_f64 v[101:102], v[50:51], v[46:47]
	v_add_f64 v[103:104], v[44:45], v[54:55]
	v_add_f64 v[105:106], v[50:51], -v[46:47]
	v_add_f64 v[107:108], v[44:45], -v[54:55]
	;; [unrolled: 1-line block ×4, first 2 shown]
	v_add_f64 v[48:49], v[56:57], v[48:49]
	v_add_f64 v[52:53], v[95:96], v[52:53]
	v_add_f64 v[50:51], v[60:61], -v[50:51]
	v_add_f64 v[44:45], v[58:59], -v[44:45]
	v_add_f64 v[56:57], v[101:102], v[60:61]
	v_add_f64 v[58:59], v[103:104], v[58:59]
	v_mul_f64 v[60:61], v[78:79], s[2:3]
	v_mul_f64 v[78:79], v[80:81], s[2:3]
	v_add_f64 v[28:29], v[28:29], v[48:49]
	v_add_f64 v[30:31], v[30:31], v[52:53]
	v_mul_f64 v[80:81], v[82:83], s[6:7]
	v_mul_f64 v[95:96], v[93:94], s[6:7]
	v_mul_f64 v[101:102], v[105:106], s[16:17]
	v_mul_f64 v[103:104], v[107:108], s[16:17]
	v_mul_f64 v[105:106], v[46:47], s[8:9]
	v_mul_f64 v[107:108], v[54:55], s[8:9]
	v_fma_f64 v[48:49], v[48:49], s[14:15], v[28:29]
	v_fma_f64 v[52:53], v[52:53], s[14:15], v[30:31]
	;; [unrolled: 1-line block ×4, first 2 shown]
	v_fma_f64 v[80:81], v[97:98], s[18:19], -v[80:81]
	v_fma_f64 v[95:96], v[99:100], s[18:19], -v[95:96]
	;; [unrolled: 1-line block ×4, first 2 shown]
	v_fma_f64 v[97:98], v[50:51], s[24:25], v[101:102]
	v_fma_f64 v[99:100], v[44:45], s[24:25], v[103:104]
	v_fma_f64 v[46:47], v[46:47], s[8:9], -v[101:102]
	v_fma_f64 v[54:55], v[54:55], s[8:9], -v[103:104]
	;; [unrolled: 1-line block ×4, first 2 shown]
	v_add_f64 v[82:83], v[82:83], v[48:49]
	v_add_f64 v[101:102], v[93:94], v[52:53]
	;; [unrolled: 1-line block ×6, first 2 shown]
	v_fma_f64 v[97:98], v[56:57], s[20:21], v[97:98]
	v_fma_f64 v[99:100], v[58:59], s[20:21], v[99:100]
	;; [unrolled: 1-line block ×6, first 2 shown]
	v_add_f64 v[46:47], v[101:102], -v[97:98]
	v_add_f64 v[44:45], v[99:100], v[82:83]
	v_add_f64 v[54:55], v[78:79], v[93:94]
	v_add_f64 v[52:53], v[80:81], -v[103:104]
	v_add_f64 v[50:51], v[95:96], -v[105:106]
	v_add_f64 v[48:49], v[107:108], v[60:61]
	v_add_f64 v[56:57], v[103:104], v[80:81]
	v_add_f64 v[58:59], v[93:94], -v[78:79]
	v_add_f64 v[78:79], v[60:61], -v[107:108]
	v_add_f64 v[80:81], v[105:106], v[95:96]
	v_add_f64 v[93:94], v[82:83], -v[99:100]
	v_add_f64 v[95:96], v[97:98], v[101:102]
	ds_write_b128 v92, v[32:35]
	ds_write_b128 v92, v[36:39] offset:1920
	ds_write_b128 v92, v[40:43] offset:3840
	;; [unrolled: 1-line block ×13, first 2 shown]
	s_and_saveexec_b64 s[28:29], vcc
	s_cbranch_execz .LBB0_35
; %bb.34:
	v_add_u32_e32 v28, -8, v86
	v_cndmask_b32_e32 v28, v28, v87, vcc
	v_mul_i32_i24_e32 v90, 6, v28
	v_lshlrev_b64 v[28:29], 4, v[90:91]
	v_mov_b32_e32 v30, s13
	v_add_co_u32_e32 v52, vcc, s12, v28
	v_addc_co_u32_e32 v53, vcc, v30, v29, vcc
	global_load_dwordx4 v[28:31], v[52:53], off offset:1936
	global_load_dwordx4 v[32:35], v[52:53], off offset:1920
	;; [unrolled: 1-line block ×6, first 2 shown]
	s_waitcnt vmcnt(5)
	v_mul_f64 v[52:53], v[18:19], v[30:31]
	s_waitcnt vmcnt(4)
	v_mul_f64 v[54:55], v[14:15], v[34:35]
	;; [unrolled: 2-line block ×6, first 2 shown]
	v_mul_f64 v[38:39], v[8:9], v[38:39]
	v_mul_f64 v[42:43], v[20:21], v[42:43]
	;; [unrolled: 1-line block ×6, first 2 shown]
	v_fma_f64 v[8:9], v[8:9], v[36:37], -v[56:57]
	v_fma_f64 v[20:21], v[20:21], v[40:41], -v[58:59]
	;; [unrolled: 1-line block ×4, first 2 shown]
	v_fma_f64 v[10:11], v[10:11], v[36:37], v[38:39]
	v_fma_f64 v[22:23], v[22:23], v[40:41], v[42:43]
	;; [unrolled: 1-line block ×4, first 2 shown]
	v_fma_f64 v[16:17], v[16:17], v[28:29], -v[52:53]
	v_fma_f64 v[12:13], v[12:13], v[32:33], -v[54:55]
	v_fma_f64 v[14:15], v[14:15], v[32:33], v[34:35]
	v_fma_f64 v[18:19], v[18:19], v[28:29], v[30:31]
	v_add_f64 v[30:31], v[8:9], -v[20:21]
	v_add_f64 v[32:33], v[0:1], -v[24:25]
	v_add_f64 v[36:37], v[10:11], v[22:23]
	v_add_f64 v[38:39], v[2:3], v[26:27]
	;; [unrolled: 1-line block ×4, first 2 shown]
	v_add_f64 v[28:29], v[16:17], -v[12:13]
	v_add_f64 v[34:35], v[14:15], v[18:19]
	v_add_f64 v[12:13], v[12:13], v[16:17]
	v_add_f64 v[14:15], v[18:19], -v[14:15]
	v_add_f64 v[10:11], v[10:11], -v[22:23]
	;; [unrolled: 1-line block ×3, first 2 shown]
	v_add_f64 v[26:27], v[36:37], v[38:39]
	v_add_f64 v[42:43], v[8:9], v[0:1]
	;; [unrolled: 1-line block ×3, first 2 shown]
	v_add_f64 v[18:19], v[28:29], -v[30:31]
	v_add_f64 v[20:21], v[32:33], -v[28:29]
	;; [unrolled: 1-line block ×5, first 2 shown]
	v_add_f64 v[44:45], v[14:15], v[10:11]
	v_add_f64 v[46:47], v[14:15], -v[10:11]
	v_add_f64 v[26:27], v[34:35], v[26:27]
	v_add_f64 v[12:13], v[12:13], v[42:43]
	v_add_f64 v[22:23], v[34:35], -v[36:37]
	v_add_f64 v[30:31], v[30:31], -v[32:33]
	;; [unrolled: 1-line block ×6, first 2 shown]
	v_mul_f64 v[18:19], v[18:19], s[16:17]
	v_mul_f64 v[24:25], v[24:25], s[2:3]
	;; [unrolled: 1-line block ×3, first 2 shown]
	v_add_f64 v[40:41], v[44:45], v[2:3]
	v_mul_f64 v[42:43], v[46:47], s[16:17]
	v_add_f64 v[2:3], v[6:7], v[26:27]
	v_add_f64 v[0:1], v[4:5], v[12:13]
	;; [unrolled: 1-line block ×3, first 2 shown]
	v_mul_f64 v[32:33], v[22:23], s[6:7]
	v_mul_f64 v[44:45], v[30:31], s[8:9]
	v_mul_f64 v[46:47], v[10:11], s[8:9]
	v_mul_f64 v[34:35], v[28:29], s[6:7]
	v_fma_f64 v[48:49], v[20:21], s[24:25], v[18:19]
	v_fma_f64 v[22:23], v[22:23], s[6:7], v[24:25]
	;; [unrolled: 1-line block ×6, first 2 shown]
	v_fma_f64 v[20:21], v[20:21], s[26:27], -v[44:45]
	v_fma_f64 v[24:25], v[36:37], s[22:23], -v[24:25]
	;; [unrolled: 1-line block ×8, first 2 shown]
	v_fma_f64 v[30:31], v[16:17], s[20:21], v[48:49]
	v_fma_f64 v[4:5], v[40:41], s[20:21], v[4:5]
	v_add_f64 v[34:35], v[22:23], v[26:27]
	v_add_f64 v[38:39], v[6:7], v[12:13]
	v_fma_f64 v[20:21], v[16:17], s[20:21], v[20:21]
	v_fma_f64 v[16:17], v[16:17], s[20:21], v[18:19]
	v_add_f64 v[22:23], v[24:25], v[26:27]
	v_add_f64 v[18:19], v[32:33], v[26:27]
	v_fma_f64 v[32:33], v[40:41], s[20:21], v[14:15]
	v_add_f64 v[28:29], v[28:29], v[12:13]
	v_fma_f64 v[36:37], v[40:41], s[20:21], v[10:11]
	v_add_f64 v[8:9], v[8:9], v[12:13]
	v_add_f64 v[26:27], v[34:35], -v[30:31]
	v_add_f64 v[24:25], v[4:5], v[38:39]
	v_add_f64 v[10:11], v[20:21], v[22:23]
	v_add_f64 v[22:23], v[22:23], -v[20:21]
	v_add_f64 v[14:15], v[18:19], -v[16:17]
	v_add_f64 v[20:21], v[32:33], v[28:29]
	v_add_f64 v[18:19], v[16:17], v[18:19]
	v_add_f64 v[16:17], v[8:9], -v[36:37]
	v_add_f64 v[12:13], v[36:37], v[8:9]
	v_add_f64 v[8:9], v[28:29], -v[32:33]
	v_add_f64 v[6:7], v[30:31], v[34:35]
	v_add_f64 v[4:5], v[38:39], -v[4:5]
	ds_write_b128 v92, v[0:3] offset:1792
	ds_write_b128 v92, v[24:27] offset:3712
	;; [unrolled: 1-line block ×7, first 2 shown]
.LBB0_35:
	s_or_b64 exec, exec, s[28:29]
	s_waitcnt lgkmcnt(0)
	; wave barrier
	s_waitcnt lgkmcnt(0)
	s_and_saveexec_b64 s[2:3], s[0:1]
	s_cbranch_execz .LBB0_37
; %bb.36:
	v_mul_lo_u32 v0, s5, v88
	v_mul_lo_u32 v1, s4, v89
	v_mad_u64_u32 v[4:5], s[0:1], s4, v88, 0
	v_mov_b32_e32 v6, s11
	v_lshl_add_u32 v10, v86, 4, 0
	v_add3_u32 v5, v5, v1, v0
	v_lshlrev_b64 v[4:5], 4, v[4:5]
	v_mov_b32_e32 v87, 0
	v_add_co_u32_e32 v7, vcc, s10, v4
	v_addc_co_u32_e32 v6, vcc, v6, v5, vcc
	v_lshlrev_b64 v[4:5], 4, v[84:85]
	ds_read_b128 v[0:3], v10
	v_add_co_u32_e32 v11, vcc, v7, v4
	v_addc_co_u32_e32 v12, vcc, v6, v5, vcc
	v_lshlrev_b64 v[4:5], 4, v[86:87]
	v_add_co_u32_e32 v8, vcc, v11, v4
	v_addc_co_u32_e32 v9, vcc, v12, v5, vcc
	ds_read_b128 v[4:7], v10 offset:896
	s_waitcnt lgkmcnt(1)
	global_store_dwordx4 v[8:9], v[0:3], off
	s_nop 0
	v_add_u32_e32 v0, 56, v86
	v_mov_b32_e32 v1, v87
	v_lshlrev_b64 v[0:1], 4, v[0:1]
	v_add_co_u32_e32 v0, vcc, v11, v0
	v_addc_co_u32_e32 v1, vcc, v12, v1, vcc
	s_waitcnt lgkmcnt(0)
	global_store_dwordx4 v[0:1], v[4:7], off
	ds_read_b128 v[0:3], v10 offset:1792
	v_add_u32_e32 v4, 0x70, v86
	v_mov_b32_e32 v5, v87
	v_lshlrev_b64 v[4:5], 4, v[4:5]
	v_add_co_u32_e32 v8, vcc, v11, v4
	v_addc_co_u32_e32 v9, vcc, v12, v5, vcc
	ds_read_b128 v[4:7], v10 offset:2688
	s_waitcnt lgkmcnt(1)
	global_store_dwordx4 v[8:9], v[0:3], off
	s_nop 0
	v_add_u32_e32 v0, 0xa8, v86
	v_mov_b32_e32 v1, v87
	v_lshlrev_b64 v[0:1], 4, v[0:1]
	v_add_co_u32_e32 v0, vcc, v11, v0
	v_addc_co_u32_e32 v1, vcc, v12, v1, vcc
	s_waitcnt lgkmcnt(0)
	global_store_dwordx4 v[0:1], v[4:7], off
	ds_read_b128 v[0:3], v10 offset:3584
	v_add_u32_e32 v4, 0xe0, v86
	v_mov_b32_e32 v5, v87
	;; [unrolled: 17-line block ×6, first 2 shown]
	v_lshlrev_b64 v[4:5], 4, v[4:5]
	v_add_co_u32_e32 v8, vcc, v11, v4
	v_addc_co_u32_e32 v9, vcc, v12, v5, vcc
	ds_read_b128 v[4:7], v10 offset:11648
	s_waitcnt lgkmcnt(1)
	global_store_dwordx4 v[8:9], v[0:3], off
	s_nop 0
	v_add_u32_e32 v0, 0x2d8, v86
	v_mov_b32_e32 v1, v87
	v_lshlrev_b64 v[0:1], 4, v[0:1]
	v_add_u32_e32 v86, 0x310, v86
	v_add_co_u32_e32 v0, vcc, v11, v0
	v_addc_co_u32_e32 v1, vcc, v12, v1, vcc
	s_waitcnt lgkmcnt(0)
	global_store_dwordx4 v[0:1], v[4:7], off
	ds_read_b128 v[0:3], v10 offset:12544
	v_lshlrev_b64 v[4:5], 4, v[86:87]
	v_add_co_u32_e32 v4, vcc, v11, v4
	v_addc_co_u32_e32 v5, vcc, v12, v5, vcc
	s_waitcnt lgkmcnt(0)
	global_store_dwordx4 v[4:5], v[0:3], off
.LBB0_37:
	s_endpgm
	.section	.rodata,"a",@progbits
	.p2align	6, 0x0
	.amdhsa_kernel fft_rtc_fwd_len840_factors_2_2_2_3_5_7_wgs_56_tpt_56_halfLds_dp_op_CI_CI_unitstride_sbrr_C2R_dirReg
		.amdhsa_group_segment_fixed_size 0
		.amdhsa_private_segment_fixed_size 0
		.amdhsa_kernarg_size 104
		.amdhsa_user_sgpr_count 6
		.amdhsa_user_sgpr_private_segment_buffer 1
		.amdhsa_user_sgpr_dispatch_ptr 0
		.amdhsa_user_sgpr_queue_ptr 0
		.amdhsa_user_sgpr_kernarg_segment_ptr 1
		.amdhsa_user_sgpr_dispatch_id 0
		.amdhsa_user_sgpr_flat_scratch_init 0
		.amdhsa_user_sgpr_private_segment_size 0
		.amdhsa_uses_dynamic_stack 0
		.amdhsa_system_sgpr_private_segment_wavefront_offset 0
		.amdhsa_system_sgpr_workgroup_id_x 1
		.amdhsa_system_sgpr_workgroup_id_y 0
		.amdhsa_system_sgpr_workgroup_id_z 0
		.amdhsa_system_sgpr_workgroup_info 0
		.amdhsa_system_vgpr_workitem_id 0
		.amdhsa_next_free_vgpr 124
		.amdhsa_next_free_sgpr 30
		.amdhsa_reserve_vcc 1
		.amdhsa_reserve_flat_scratch 0
		.amdhsa_float_round_mode_32 0
		.amdhsa_float_round_mode_16_64 0
		.amdhsa_float_denorm_mode_32 3
		.amdhsa_float_denorm_mode_16_64 3
		.amdhsa_dx10_clamp 1
		.amdhsa_ieee_mode 1
		.amdhsa_fp16_overflow 0
		.amdhsa_exception_fp_ieee_invalid_op 0
		.amdhsa_exception_fp_denorm_src 0
		.amdhsa_exception_fp_ieee_div_zero 0
		.amdhsa_exception_fp_ieee_overflow 0
		.amdhsa_exception_fp_ieee_underflow 0
		.amdhsa_exception_fp_ieee_inexact 0
		.amdhsa_exception_int_div_zero 0
	.end_amdhsa_kernel
	.text
.Lfunc_end0:
	.size	fft_rtc_fwd_len840_factors_2_2_2_3_5_7_wgs_56_tpt_56_halfLds_dp_op_CI_CI_unitstride_sbrr_C2R_dirReg, .Lfunc_end0-fft_rtc_fwd_len840_factors_2_2_2_3_5_7_wgs_56_tpt_56_halfLds_dp_op_CI_CI_unitstride_sbrr_C2R_dirReg
                                        ; -- End function
	.section	.AMDGPU.csdata,"",@progbits
; Kernel info:
; codeLenInByte = 13536
; NumSgprs: 34
; NumVgprs: 124
; ScratchSize: 0
; MemoryBound: 0
; FloatMode: 240
; IeeeMode: 1
; LDSByteSize: 0 bytes/workgroup (compile time only)
; SGPRBlocks: 4
; VGPRBlocks: 30
; NumSGPRsForWavesPerEU: 34
; NumVGPRsForWavesPerEU: 124
; Occupancy: 2
; WaveLimiterHint : 1
; COMPUTE_PGM_RSRC2:SCRATCH_EN: 0
; COMPUTE_PGM_RSRC2:USER_SGPR: 6
; COMPUTE_PGM_RSRC2:TRAP_HANDLER: 0
; COMPUTE_PGM_RSRC2:TGID_X_EN: 1
; COMPUTE_PGM_RSRC2:TGID_Y_EN: 0
; COMPUTE_PGM_RSRC2:TGID_Z_EN: 0
; COMPUTE_PGM_RSRC2:TIDIG_COMP_CNT: 0
	.type	__hip_cuid_e90aecaf15b137f6,@object ; @__hip_cuid_e90aecaf15b137f6
	.section	.bss,"aw",@nobits
	.globl	__hip_cuid_e90aecaf15b137f6
__hip_cuid_e90aecaf15b137f6:
	.byte	0                               ; 0x0
	.size	__hip_cuid_e90aecaf15b137f6, 1

	.ident	"AMD clang version 19.0.0git (https://github.com/RadeonOpenCompute/llvm-project roc-6.4.0 25133 c7fe45cf4b819c5991fe208aaa96edf142730f1d)"
	.section	".note.GNU-stack","",@progbits
	.addrsig
	.addrsig_sym __hip_cuid_e90aecaf15b137f6
	.amdgpu_metadata
---
amdhsa.kernels:
  - .args:
      - .actual_access:  read_only
        .address_space:  global
        .offset:         0
        .size:           8
        .value_kind:     global_buffer
      - .offset:         8
        .size:           8
        .value_kind:     by_value
      - .actual_access:  read_only
        .address_space:  global
        .offset:         16
        .size:           8
        .value_kind:     global_buffer
      - .actual_access:  read_only
        .address_space:  global
        .offset:         24
        .size:           8
        .value_kind:     global_buffer
      - .actual_access:  read_only
        .address_space:  global
        .offset:         32
        .size:           8
        .value_kind:     global_buffer
      - .offset:         40
        .size:           8
        .value_kind:     by_value
      - .actual_access:  read_only
        .address_space:  global
        .offset:         48
        .size:           8
        .value_kind:     global_buffer
      - .actual_access:  read_only
        .address_space:  global
        .offset:         56
        .size:           8
        .value_kind:     global_buffer
      - .offset:         64
        .size:           4
        .value_kind:     by_value
      - .actual_access:  read_only
        .address_space:  global
        .offset:         72
        .size:           8
        .value_kind:     global_buffer
      - .actual_access:  read_only
        .address_space:  global
        .offset:         80
        .size:           8
        .value_kind:     global_buffer
      - .actual_access:  read_only
        .address_space:  global
        .offset:         88
        .size:           8
        .value_kind:     global_buffer
      - .actual_access:  write_only
        .address_space:  global
        .offset:         96
        .size:           8
        .value_kind:     global_buffer
    .group_segment_fixed_size: 0
    .kernarg_segment_align: 8
    .kernarg_segment_size: 104
    .language:       OpenCL C
    .language_version:
      - 2
      - 0
    .max_flat_workgroup_size: 56
    .name:           fft_rtc_fwd_len840_factors_2_2_2_3_5_7_wgs_56_tpt_56_halfLds_dp_op_CI_CI_unitstride_sbrr_C2R_dirReg
    .private_segment_fixed_size: 0
    .sgpr_count:     34
    .sgpr_spill_count: 0
    .symbol:         fft_rtc_fwd_len840_factors_2_2_2_3_5_7_wgs_56_tpt_56_halfLds_dp_op_CI_CI_unitstride_sbrr_C2R_dirReg.kd
    .uniform_work_group_size: 1
    .uses_dynamic_stack: false
    .vgpr_count:     124
    .vgpr_spill_count: 0
    .wavefront_size: 64
amdhsa.target:   amdgcn-amd-amdhsa--gfx906
amdhsa.version:
  - 1
  - 2
...

	.end_amdgpu_metadata
